;; amdgpu-corpus repo=ROCm/rocSPARSE kind=compiled arch=gfx90a opt=O3
	.text
	.amdgcn_target "amdgcn-amd-amdhsa--gfx90a"
	.amdhsa_code_object_version 6
	.section	.text._ZN9rocsparseL28coommnn_general_block_reduceILj1024EfifEEvT1_S1_PKS1_PKT0_PT2_ll16rocsparse_order_,"axG",@progbits,_ZN9rocsparseL28coommnn_general_block_reduceILj1024EfifEEvT1_S1_PKS1_PKT0_PT2_ll16rocsparse_order_,comdat
	.globl	_ZN9rocsparseL28coommnn_general_block_reduceILj1024EfifEEvT1_S1_PKS1_PKT0_PT2_ll16rocsparse_order_ ; -- Begin function _ZN9rocsparseL28coommnn_general_block_reduceILj1024EfifEEvT1_S1_PKS1_PKT0_PT2_ll16rocsparse_order_
	.p2align	8
	.type	_ZN9rocsparseL28coommnn_general_block_reduceILj1024EfifEEvT1_S1_PKS1_PKT0_PT2_ll16rocsparse_order_,@function
_ZN9rocsparseL28coommnn_general_block_reduceILj1024EfifEEvT1_S1_PKS1_PKT0_PT2_ll16rocsparse_order_: ; @_ZN9rocsparseL28coommnn_general_block_reduceILj1024EfifEEvT1_S1_PKS1_PKT0_PT2_ll16rocsparse_order_
; %bb.0:
	s_load_dwordx2 s[34:35], s[4:5], 0x0
	s_waitcnt lgkmcnt(0)
	s_cmp_lt_i32 s35, 1
	s_cbranch_scc1 .LBB0_53
; %bb.1:
	s_load_dwordx8 s[24:31], s[4:5], 0x8
	s_load_dwordx2 s[38:39], s[4:5], 0x28
	s_load_dword s36, s[4:5], 0x30
	s_mul_i32 s0, s7, s34
	s_add_i32 s0, s0, s6
	s_mov_b32 s34, s7
	s_waitcnt lgkmcnt(0)
	s_mul_i32 s39, s34, s39
	s_cmp_lg_u32 s36, 1
	s_cselect_b64 s[36:37], -1, 0
	s_ashr_i32 s40, s34, 31
	s_mul_hi_u32 s41, s34, s38
	s_mul_i32 s42, s7, s35
	s_ashr_i32 s7, s6, 31
	s_add_i32 s39, s41, s39
	s_mul_i32 s40, s40, s38
	s_add_i32 s39, s39, s40
	s_lshl_b64 s[40:41], s[6:7], 2
	s_mul_i32 s38, s34, s38
	s_add_u32 s34, s28, s40
	s_addc_u32 s44, s29, s41
	s_lshl_b64 s[40:41], s[38:39], 2
	s_add_u32 s34, s34, s40
	s_addc_u32 s38, s44, s41
	s_mul_i32 s39, s6, s31
	s_mul_hi_u32 s44, s6, s30
	s_add_i32 s39, s44, s39
	s_mul_i32 s7, s7, s30
	s_add_i32 s7, s39, s7
	s_mul_i32 s6, s6, s30
	s_lshl_b64 s[6:7], s[6:7], 2
	s_add_u32 s6, s28, s6
	s_addc_u32 s7, s29, s7
	v_lshlrev_b32_e32 v1, 2, v0
	s_mul_i32 s43, s0, s35
	s_movk_i32 s14, 0x7f
	s_movk_i32 s16, 0xff
	;; [unrolled: 1-line block ×4, first 2 shown]
	s_add_u32 s39, s6, s40
	v_or_b32_e32 v6, 0x1000, v1
	s_mov_b32 s33, 0
	v_cmp_ne_u32_e64 s[0:1], 0, v0
	v_add_u32_e32 v7, -4, v1
	v_add_u32_e32 v8, 0xffc, v1
	v_cmp_lt_u32_e64 s[2:3], 1, v0
	v_add_u32_e32 v9, -8, v1
	v_add_u32_e32 v10, 0xff8, v1
	v_cmp_lt_u32_e64 s[4:5], 3, v0
	;; [unrolled: 3-line block ×3, first 2 shown]
	v_subrev_u32_e32 v13, 32, v1
	v_add_u32_e32 v14, 0xfe0, v1
	v_cmp_lt_u32_e64 s[8:9], 15, v0
	v_subrev_u32_e32 v15, 64, v1
	v_add_u32_e32 v16, 0xfc0, v1
	v_cmp_lt_u32_e64 s[10:11], 31, v0
	v_add_u32_e32 v17, 0xffffff80, v1
	v_add_u32_e32 v18, 0xf80, v1
	v_cmp_lt_u32_e64 s[12:13], 63, v0
	v_add_u32_e32 v19, 0xffffff00, v1
	;; [unrolled: 3-line block ×5, first 2 shown]
	v_add_u32_e32 v26, 0x800, v1
	v_cmp_ne_u32_e64 s[20:21], s20, v0
	s_addc_u32 s40, s7, s41
	v_add_u32_e32 v27, s43, v0
	v_add_u32_e32 v28, s42, v0
	v_mov_b32_e32 v3, 0
	s_branch .LBB0_4
.LBB0_2:                                ;   in Loop: Header=BB0_4 Depth=1
	global_load_dword v2, v[4:5], off
	s_waitcnt vmcnt(0) lgkmcnt(0)
	v_add_f32_e32 v2, v29, v2
	global_store_dword v[4:5], v2, off
.LBB0_3:                                ;   in Loop: Header=BB0_4 Depth=1
	s_or_b64 exec, exec, s[6:7]
	s_addk_i32 s33, 0x400
	s_cmp_ge_i32 s33, s35
	s_barrier
	s_cbranch_scc1 .LBB0_53
.LBB0_4:                                ; =>This Inner Loop Header: Depth=1
	v_add_u32_e32 v2, s33, v0
	v_cmp_gt_i32_e32 vcc, s35, v2
	v_mov_b32_e32 v2, -1
	v_mov_b32_e32 v4, 0
	s_and_saveexec_b64 s[6:7], vcc
	s_cbranch_execz .LBB0_6
; %bb.5:                                ;   in Loop: Header=BB0_4 Depth=1
	v_add_u32_e32 v4, s33, v28
	v_ashrrev_i32_e32 v5, 31, v4
	v_lshlrev_b64 v[4:5], 2, v[4:5]
	v_mov_b32_e32 v2, s25
	v_add_co_u32_e32 v4, vcc, s24, v4
	v_addc_co_u32_e32 v5, vcc, v2, v5, vcc
	global_load_dword v2, v[4:5], off
	v_add_u32_e32 v4, s33, v27
	v_ashrrev_i32_e32 v5, 31, v4
	v_lshlrev_b64 v[4:5], 2, v[4:5]
	v_mov_b32_e32 v29, s27
	v_add_co_u32_e32 v4, vcc, s26, v4
	v_addc_co_u32_e32 v5, vcc, v29, v5, vcc
	global_load_dword v4, v[4:5], off
.LBB0_6:                                ;   in Loop: Header=BB0_4 Depth=1
	s_or_b64 exec, exec, s[6:7]
	s_waitcnt vmcnt(1)
	ds_write_b32 v1, v2
	s_waitcnt vmcnt(0)
	ds_write_b32 v6, v4
	v_mov_b32_e32 v2, 0
	v_mov_b32_e32 v4, 0
	s_waitcnt lgkmcnt(0)
	s_barrier
	s_and_saveexec_b64 s[6:7], s[0:1]
	s_cbranch_execz .LBB0_10
; %bb.7:                                ;   in Loop: Header=BB0_4 Depth=1
	ds_read2_b32 v[4:5], v7 offset1:1
	s_waitcnt lgkmcnt(0)
	v_cmp_eq_u32_e32 vcc, v5, v4
	v_mov_b32_e32 v4, 0
	s_and_saveexec_b64 s[28:29], vcc
	s_cbranch_execz .LBB0_9
; %bb.8:                                ;   in Loop: Header=BB0_4 Depth=1
	ds_read_b32 v4, v8
.LBB0_9:                                ;   in Loop: Header=BB0_4 Depth=1
	s_or_b64 exec, exec, s[28:29]
.LBB0_10:                               ;   in Loop: Header=BB0_4 Depth=1
	s_or_b64 exec, exec, s[6:7]
	s_waitcnt lgkmcnt(0)
	s_barrier
	ds_read_b32 v5, v6
	s_waitcnt lgkmcnt(0)
	v_add_f32_e32 v4, v4, v5
	ds_write_b32 v6, v4
	s_waitcnt lgkmcnt(0)
	s_barrier
	s_and_saveexec_b64 s[6:7], s[2:3]
	s_cbranch_execz .LBB0_14
; %bb.11:                               ;   in Loop: Header=BB0_4 Depth=1
	ds_read_b32 v2, v1
	ds_read_b32 v4, v9
	s_waitcnt lgkmcnt(0)
	v_cmp_eq_u32_e32 vcc, v2, v4
	v_mov_b32_e32 v2, 0
	s_and_saveexec_b64 s[28:29], vcc
	s_cbranch_execz .LBB0_13
; %bb.12:                               ;   in Loop: Header=BB0_4 Depth=1
	ds_read_b32 v2, v10
.LBB0_13:                               ;   in Loop: Header=BB0_4 Depth=1
	s_or_b64 exec, exec, s[28:29]
.LBB0_14:                               ;   in Loop: Header=BB0_4 Depth=1
	s_or_b64 exec, exec, s[6:7]
	s_waitcnt lgkmcnt(0)
	s_barrier
	ds_read_b32 v4, v6
	s_waitcnt lgkmcnt(0)
	v_add_f32_e32 v2, v2, v4
	ds_write_b32 v6, v2
	v_mov_b32_e32 v2, 0
	v_mov_b32_e32 v4, 0
	s_waitcnt lgkmcnt(0)
	s_barrier
	s_and_saveexec_b64 s[6:7], s[4:5]
	s_cbranch_execz .LBB0_18
; %bb.15:                               ;   in Loop: Header=BB0_4 Depth=1
	ds_read_b32 v4, v1
	ds_read_b32 v5, v11
	s_waitcnt lgkmcnt(0)
	v_cmp_eq_u32_e32 vcc, v4, v5
	v_mov_b32_e32 v4, 0
	s_and_saveexec_b64 s[28:29], vcc
	s_cbranch_execz .LBB0_17
; %bb.16:                               ;   in Loop: Header=BB0_4 Depth=1
	ds_read_b32 v4, v12
.LBB0_17:                               ;   in Loop: Header=BB0_4 Depth=1
	s_or_b64 exec, exec, s[28:29]
.LBB0_18:                               ;   in Loop: Header=BB0_4 Depth=1
	s_or_b64 exec, exec, s[6:7]
	s_waitcnt lgkmcnt(0)
	s_barrier
	ds_read_b32 v5, v6
	s_waitcnt lgkmcnt(0)
	v_add_f32_e32 v4, v4, v5
	ds_write_b32 v6, v4
	s_waitcnt lgkmcnt(0)
	s_barrier
	s_and_saveexec_b64 s[6:7], s[22:23]
	s_cbranch_execz .LBB0_22
; %bb.19:                               ;   in Loop: Header=BB0_4 Depth=1
	ds_read_b32 v2, v1
	ds_read_b32 v4, v13
	s_waitcnt lgkmcnt(0)
	v_cmp_eq_u32_e32 vcc, v2, v4
	v_mov_b32_e32 v2, 0
	s_and_saveexec_b64 s[28:29], vcc
	s_cbranch_execz .LBB0_21
; %bb.20:                               ;   in Loop: Header=BB0_4 Depth=1
	ds_read_b32 v2, v14
.LBB0_21:                               ;   in Loop: Header=BB0_4 Depth=1
	s_or_b64 exec, exec, s[28:29]
.LBB0_22:                               ;   in Loop: Header=BB0_4 Depth=1
	s_or_b64 exec, exec, s[6:7]
	s_waitcnt lgkmcnt(0)
	s_barrier
	ds_read_b32 v4, v6
	s_waitcnt lgkmcnt(0)
	v_add_f32_e32 v2, v2, v4
	ds_write_b32 v6, v2
	v_mov_b32_e32 v2, 0
	v_mov_b32_e32 v4, 0
	s_waitcnt lgkmcnt(0)
	s_barrier
	s_and_saveexec_b64 s[6:7], s[8:9]
	s_cbranch_execz .LBB0_26
; %bb.23:                               ;   in Loop: Header=BB0_4 Depth=1
	ds_read_b32 v4, v1
	ds_read_b32 v5, v15
	s_waitcnt lgkmcnt(0)
	v_cmp_eq_u32_e32 vcc, v4, v5
	v_mov_b32_e32 v4, 0
	s_and_saveexec_b64 s[28:29], vcc
	s_cbranch_execz .LBB0_25
; %bb.24:                               ;   in Loop: Header=BB0_4 Depth=1
	ds_read_b32 v4, v16
.LBB0_25:                               ;   in Loop: Header=BB0_4 Depth=1
	s_or_b64 exec, exec, s[28:29]
.LBB0_26:                               ;   in Loop: Header=BB0_4 Depth=1
	;; [unrolled: 50-line block ×4, first 2 shown]
	s_or_b64 exec, exec, s[6:7]
	s_waitcnt lgkmcnt(0)
	s_barrier
	ds_read_b32 v5, v6
	s_waitcnt lgkmcnt(0)
	v_add_f32_e32 v4, v4, v5
	ds_write_b32 v6, v4
	s_waitcnt lgkmcnt(0)
	s_barrier
	s_and_saveexec_b64 s[6:7], s[18:19]
	s_cbranch_execz .LBB0_46
; %bb.43:                               ;   in Loop: Header=BB0_4 Depth=1
	ds_read_b32 v2, v1
	ds_read_b32 v4, v25
	s_waitcnt lgkmcnt(0)
	v_cmp_eq_u32_e32 vcc, v2, v4
	v_mov_b32_e32 v2, 0
	s_and_saveexec_b64 s[28:29], vcc
	s_cbranch_execz .LBB0_45
; %bb.44:                               ;   in Loop: Header=BB0_4 Depth=1
	ds_read_b32 v2, v26
.LBB0_45:                               ;   in Loop: Header=BB0_4 Depth=1
	s_or_b64 exec, exec, s[28:29]
.LBB0_46:                               ;   in Loop: Header=BB0_4 Depth=1
	s_or_b64 exec, exec, s[6:7]
	s_waitcnt lgkmcnt(0)
	s_barrier
	ds_read_b32 v4, v6
	s_waitcnt lgkmcnt(0)
	v_add_f32_e32 v2, v2, v4
	ds_write_b32 v6, v2
	s_waitcnt lgkmcnt(0)
	s_barrier
	ds_read_b32 v2, v1
	v_mov_b32_e32 v4, -1
	s_and_saveexec_b64 s[6:7], s[20:21]
	s_cbranch_execz .LBB0_48
; %bb.47:                               ;   in Loop: Header=BB0_4 Depth=1
	ds_read_b32 v4, v1 offset:4
.LBB0_48:                               ;   in Loop: Header=BB0_4 Depth=1
	s_or_b64 exec, exec, s[6:7]
	s_waitcnt lgkmcnt(0)
	v_cmp_ne_u32_e32 vcc, v2, v4
	v_cmp_lt_i32_e64 s[6:7], -1, v2
	s_and_b64 s[28:29], s[6:7], vcc
	s_and_saveexec_b64 s[6:7], s[28:29]
	s_cbranch_execz .LBB0_3
; %bb.49:                               ;   in Loop: Header=BB0_4 Depth=1
	ds_read_b32 v29, v6
	s_and_b64 vcc, exec, s[36:37]
	s_cbranch_vccz .LBB0_51
; %bb.50:                               ;   in Loop: Header=BB0_4 Depth=1
	v_mad_u64_u32 v[4:5], s[28:29], v2, s30, 0
	v_mov_b32_e32 v30, v5
	v_mad_u64_u32 v[30:31], s[28:29], v2, s31, v[30:31]
	v_mov_b32_e32 v5, v30
	v_lshlrev_b64 v[4:5], 2, v[4:5]
	v_mov_b32_e32 v30, s38
	v_add_co_u32_e32 v4, vcc, s34, v4
	v_addc_co_u32_e32 v5, vcc, v30, v5, vcc
	s_cbranch_execnz .LBB0_2
	s_branch .LBB0_52
.LBB0_51:                               ;   in Loop: Header=BB0_4 Depth=1
                                        ; implicit-def: $vgpr4_vgpr5
.LBB0_52:                               ;   in Loop: Header=BB0_4 Depth=1
	v_lshlrev_b64 v[4:5], 2, v[2:3]
	v_mov_b32_e32 v2, s40
	v_add_co_u32_e32 v4, vcc, s39, v4
	v_addc_co_u32_e32 v5, vcc, v2, v5, vcc
	s_branch .LBB0_2
.LBB0_53:
	s_endpgm
	.section	.rodata,"a",@progbits
	.p2align	6, 0x0
	.amdhsa_kernel _ZN9rocsparseL28coommnn_general_block_reduceILj1024EfifEEvT1_S1_PKS1_PKT0_PT2_ll16rocsparse_order_
		.amdhsa_group_segment_fixed_size 8192
		.amdhsa_private_segment_fixed_size 0
		.amdhsa_kernarg_size 52
		.amdhsa_user_sgpr_count 6
		.amdhsa_user_sgpr_private_segment_buffer 1
		.amdhsa_user_sgpr_dispatch_ptr 0
		.amdhsa_user_sgpr_queue_ptr 0
		.amdhsa_user_sgpr_kernarg_segment_ptr 1
		.amdhsa_user_sgpr_dispatch_id 0
		.amdhsa_user_sgpr_flat_scratch_init 0
		.amdhsa_user_sgpr_kernarg_preload_length 0
		.amdhsa_user_sgpr_kernarg_preload_offset 0
		.amdhsa_user_sgpr_private_segment_size 0
		.amdhsa_uses_dynamic_stack 0
		.amdhsa_system_sgpr_private_segment_wavefront_offset 0
		.amdhsa_system_sgpr_workgroup_id_x 1
		.amdhsa_system_sgpr_workgroup_id_y 0
		.amdhsa_system_sgpr_workgroup_id_z 1
		.amdhsa_system_sgpr_workgroup_info 0
		.amdhsa_system_vgpr_workitem_id 0
		.amdhsa_next_free_vgpr 32
		.amdhsa_next_free_sgpr 45
		.amdhsa_accum_offset 32
		.amdhsa_reserve_vcc 1
		.amdhsa_reserve_flat_scratch 0
		.amdhsa_float_round_mode_32 0
		.amdhsa_float_round_mode_16_64 0
		.amdhsa_float_denorm_mode_32 3
		.amdhsa_float_denorm_mode_16_64 3
		.amdhsa_dx10_clamp 1
		.amdhsa_ieee_mode 1
		.amdhsa_fp16_overflow 0
		.amdhsa_tg_split 0
		.amdhsa_exception_fp_ieee_invalid_op 0
		.amdhsa_exception_fp_denorm_src 0
		.amdhsa_exception_fp_ieee_div_zero 0
		.amdhsa_exception_fp_ieee_overflow 0
		.amdhsa_exception_fp_ieee_underflow 0
		.amdhsa_exception_fp_ieee_inexact 0
		.amdhsa_exception_int_div_zero 0
	.end_amdhsa_kernel
	.section	.text._ZN9rocsparseL28coommnn_general_block_reduceILj1024EfifEEvT1_S1_PKS1_PKT0_PT2_ll16rocsparse_order_,"axG",@progbits,_ZN9rocsparseL28coommnn_general_block_reduceILj1024EfifEEvT1_S1_PKS1_PKT0_PT2_ll16rocsparse_order_,comdat
.Lfunc_end0:
	.size	_ZN9rocsparseL28coommnn_general_block_reduceILj1024EfifEEvT1_S1_PKS1_PKT0_PT2_ll16rocsparse_order_, .Lfunc_end0-_ZN9rocsparseL28coommnn_general_block_reduceILj1024EfifEEvT1_S1_PKS1_PKT0_PT2_ll16rocsparse_order_
                                        ; -- End function
	.section	.AMDGPU.csdata,"",@progbits
; Kernel info:
; codeLenInByte = 1816
; NumSgprs: 49
; NumVgprs: 32
; NumAgprs: 0
; TotalNumVgprs: 32
; ScratchSize: 0
; MemoryBound: 0
; FloatMode: 240
; IeeeMode: 1
; LDSByteSize: 8192 bytes/workgroup (compile time only)
; SGPRBlocks: 6
; VGPRBlocks: 3
; NumSGPRsForWavesPerEU: 49
; NumVGPRsForWavesPerEU: 32
; AccumOffset: 32
; Occupancy: 8
; WaveLimiterHint : 0
; COMPUTE_PGM_RSRC2:SCRATCH_EN: 0
; COMPUTE_PGM_RSRC2:USER_SGPR: 6
; COMPUTE_PGM_RSRC2:TRAP_HANDLER: 0
; COMPUTE_PGM_RSRC2:TGID_X_EN: 1
; COMPUTE_PGM_RSRC2:TGID_Y_EN: 0
; COMPUTE_PGM_RSRC2:TGID_Z_EN: 1
; COMPUTE_PGM_RSRC2:TIDIG_COMP_CNT: 0
; COMPUTE_PGM_RSRC3_GFX90A:ACCUM_OFFSET: 7
; COMPUTE_PGM_RSRC3_GFX90A:TG_SPLIT: 0
	.section	.text._ZN9rocsparseL28coommnn_general_block_reduceILj1024EflfEEvT1_S1_PKS1_PKT0_PT2_ll16rocsparse_order_,"axG",@progbits,_ZN9rocsparseL28coommnn_general_block_reduceILj1024EflfEEvT1_S1_PKS1_PKT0_PT2_ll16rocsparse_order_,comdat
	.globl	_ZN9rocsparseL28coommnn_general_block_reduceILj1024EflfEEvT1_S1_PKS1_PKT0_PT2_ll16rocsparse_order_ ; -- Begin function _ZN9rocsparseL28coommnn_general_block_reduceILj1024EflfEEvT1_S1_PKS1_PKT0_PT2_ll16rocsparse_order_
	.p2align	8
	.type	_ZN9rocsparseL28coommnn_general_block_reduceILj1024EflfEEvT1_S1_PKS1_PKT0_PT2_ll16rocsparse_order_,@function
_ZN9rocsparseL28coommnn_general_block_reduceILj1024EflfEEvT1_S1_PKS1_PKT0_PT2_ll16rocsparse_order_: ; @_ZN9rocsparseL28coommnn_general_block_reduceILj1024EflfEEvT1_S1_PKS1_PKT0_PT2_ll16rocsparse_order_
; %bb.0:
	s_load_dwordx4 s[28:31], s[4:5], 0x0
	s_waitcnt lgkmcnt(0)
	v_cmp_lt_i64_e64 s[0:1], s[30:31], 1
	s_and_b64 vcc, exec, s[0:1]
	s_cbranch_vccnz .LBB1_53
; %bb.1:
	s_load_dwordx8 s[36:43], s[4:5], 0x10
	s_load_dwordx2 s[34:35], s[4:5], 0x30
	s_load_dword s25, s[4:5], 0x38
	s_mov_b32 s24, s7
	s_mov_b32 s7, 0
	s_lshl_b64 s[44:45], s[6:7], 2
	s_waitcnt lgkmcnt(0)
	s_add_u32 s7, s40, s44
	s_addc_u32 s48, s41, s45
	s_ashr_i32 s49, s24, 31
	s_cmp_lg_u32 s25, 1
	s_mul_i32 s25, s24, s35
	s_mul_hi_u32 s33, s24, s34
	s_cselect_b64 s[26:27], -1, 0
	s_add_i32 s25, s33, s25
	s_mul_i32 s33, s49, s34
	s_add_i32 s35, s25, s33
	s_mul_i32 s34, s24, s34
	s_lshl_b64 s[46:47], s[34:35], 2
	s_add_u32 s33, s7, s46
	s_mul_i32 s7, s6, s43
	s_mul_hi_u32 s25, s6, s42
	s_addc_u32 s34, s48, s47
	s_add_i32 s7, s25, s7
	s_mul_i32 s6, s6, s42
	s_lshl_b64 s[6:7], s[6:7], 2
	s_add_u32 s6, s40, s6
	s_addc_u32 s7, s41, s7
	s_add_u32 s35, s6, s46
	s_addc_u32 s40, s7, s47
	s_mul_hi_u32 s6, s28, s24
	s_mul_i32 s7, s28, s49
	s_add_i32 s6, s6, s7
	s_mul_i32 s7, s29, s24
	s_add_i32 s7, s6, s7
	s_mul_i32 s6, s28, s24
	s_lshl_b64 s[6:7], s[6:7], 2
	s_add_u32 s6, s6, s44
	s_addc_u32 s7, s7, s45
	s_mul_i32 s7, s30, s7
	s_mul_hi_u32 s25, s30, s6
	s_add_i32 s7, s25, s7
	s_mul_i32 s25, s31, s6
	s_add_i32 s7, s7, s25
	s_mul_i32 s6, s30, s6
	s_add_u32 s6, s38, s6
	v_lshlrev_b32_e32 v2, 2, v0
	s_addc_u32 s7, s39, s7
	v_or_b32_e32 v10, 0x2000, v2
	v_add_u32_e32 v12, 0x1ffc, v2
	v_add_u32_e32 v14, 0x1ff8, v2
	;; [unrolled: 1-line block ×10, first 2 shown]
	v_mov_b32_e32 v3, s7
	v_add_co_u32_e32 v2, vcc, s6, v2
	s_mul_hi_u32 s6, s30, s24
	s_mul_i32 s7, s30, s49
	s_add_i32 s6, s6, s7
	s_mul_i32 s7, s31, s24
	s_add_i32 s7, s6, s7
	s_mul_i32 s6, s30, s24
	s_lshl_b64 s[6:7], s[6:7], 3
	s_add_u32 s6, s36, s6
	v_lshlrev_b32_e32 v1, 3, v0
	v_addc_co_u32_e32 v3, vcc, 0, v3, vcc
	s_addc_u32 s7, s37, s7
	s_movk_i32 s14, 0x7f
	s_movk_i32 s16, 0xff
	;; [unrolled: 1-line block ×4, first 2 shown]
	v_mov_b32_e32 v5, s7
	v_add_co_u32_e32 v4, vcc, s6, v1
	v_cmp_ne_u32_e64 s[0:1], 0, v0
	v_add_u32_e32 v11, -8, v1
	v_cmp_lt_u32_e64 s[2:3], 1, v0
	v_add_u32_e32 v13, -16, v1
	v_cmp_lt_u32_e64 s[4:5], 3, v0
	v_subrev_u32_e32 v15, 32, v1
	v_cmp_lt_u32_e64 s[22:23], 7, v0
	v_subrev_u32_e32 v17, 64, v1
	v_cmp_lt_u32_e64 s[8:9], 15, v0
	v_add_u32_e32 v19, 0xffffff80, v1
	v_cmp_lt_u32_e64 s[10:11], 31, v0
	v_add_u32_e32 v21, 0xffffff00, v1
	;; [unrolled: 2-line block ×6, first 2 shown]
	v_cmp_ne_u32_e64 s[20:21], s20, v0
	v_addc_co_u32_e32 v5, vcc, 0, v5, vcc
	s_mov_b64 s[24:25], 0
	s_branch .LBB1_4
.LBB1_2:                                ;   in Loop: Header=BB1_4 Depth=1
	global_load_dword v6, v[8:9], off
	s_waitcnt vmcnt(0) lgkmcnt(0)
	v_add_f32_e32 v6, v31, v6
	global_store_dword v[8:9], v6, off
.LBB1_3:                                ;   in Loop: Header=BB1_4 Depth=1
	s_or_b64 exec, exec, s[6:7]
	v_add_co_u32_e32 v2, vcc, 0x1000, v2
	v_addc_co_u32_e32 v3, vcc, 0, v3, vcc
	s_add_u32 s24, s24, 0x400
	v_add_co_u32_e32 v4, vcc, 0x2000, v4
	s_addc_u32 s25, s25, 0
	v_addc_co_u32_e32 v5, vcc, 0, v5, vcc
	v_pk_mov_b32 v[6:7], s[30:31], s[30:31] op_sel:[0,1]
	v_cmp_ge_i64_e32 vcc, s[24:25], v[6:7]
	s_barrier
	s_cbranch_vccnz .LBB1_53
.LBB1_4:                                ; =>This Inner Loop Header: Depth=1
	v_mov_b32_e32 v7, s25
	v_add_co_u32_e32 v6, vcc, s24, v0
	v_addc_co_u32_e32 v7, vcc, 0, v7, vcc
	v_cmp_gt_i64_e32 vcc, s[30:31], v[6:7]
	v_pk_mov_b32 v[6:7], -1, -1
	v_mov_b32_e32 v8, 0
	s_and_saveexec_b64 s[6:7], vcc
	s_cbranch_execz .LBB1_6
; %bb.5:                                ;   in Loop: Header=BB1_4 Depth=1
	global_load_dwordx2 v[6:7], v[4:5], off
	global_load_dword v8, v[2:3], off
.LBB1_6:                                ;   in Loop: Header=BB1_4 Depth=1
	s_or_b64 exec, exec, s[6:7]
	s_waitcnt vmcnt(1)
	ds_write_b64 v1, v[6:7]
	s_waitcnt vmcnt(0)
	ds_write_b32 v10, v8
	v_mov_b32_e32 v6, 0
	s_waitcnt lgkmcnt(0)
	s_barrier
	s_and_saveexec_b64 s[6:7], s[0:1]
	s_cbranch_execz .LBB1_10
; %bb.7:                                ;   in Loop: Header=BB1_4 Depth=1
	ds_read2_b64 v[6:9], v11 offset1:1
	s_waitcnt lgkmcnt(0)
	v_cmp_eq_u64_e32 vcc, v[8:9], v[6:7]
	v_mov_b32_e32 v6, 0
	s_and_saveexec_b64 s[28:29], vcc
	s_cbranch_execz .LBB1_9
; %bb.8:                                ;   in Loop: Header=BB1_4 Depth=1
	ds_read_b32 v6, v12
.LBB1_9:                                ;   in Loop: Header=BB1_4 Depth=1
	s_or_b64 exec, exec, s[28:29]
.LBB1_10:                               ;   in Loop: Header=BB1_4 Depth=1
	s_or_b64 exec, exec, s[6:7]
	s_waitcnt lgkmcnt(0)
	s_barrier
	ds_read_b32 v7, v10
	s_waitcnt lgkmcnt(0)
	v_add_f32_e32 v6, v6, v7
	ds_write_b32 v10, v6
	v_mov_b32_e32 v6, 0
	v_mov_b32_e32 v7, 0
	s_waitcnt lgkmcnt(0)
	s_barrier
	s_and_saveexec_b64 s[6:7], s[2:3]
	s_cbranch_execz .LBB1_14
; %bb.11:                               ;   in Loop: Header=BB1_4 Depth=1
	ds_read_b64 v[8:9], v1
	ds_read_b64 v[32:33], v13
	v_mov_b32_e32 v7, 0
	s_waitcnt lgkmcnt(0)
	v_cmp_eq_u64_e32 vcc, v[8:9], v[32:33]
	s_and_saveexec_b64 s[28:29], vcc
	s_cbranch_execz .LBB1_13
; %bb.12:                               ;   in Loop: Header=BB1_4 Depth=1
	ds_read_b32 v7, v14
.LBB1_13:                               ;   in Loop: Header=BB1_4 Depth=1
	s_or_b64 exec, exec, s[28:29]
.LBB1_14:                               ;   in Loop: Header=BB1_4 Depth=1
	s_or_b64 exec, exec, s[6:7]
	s_waitcnt lgkmcnt(0)
	s_barrier
	ds_read_b32 v8, v10
	s_waitcnt lgkmcnt(0)
	v_add_f32_e32 v7, v7, v8
	ds_write_b32 v10, v7
	s_waitcnt lgkmcnt(0)
	s_barrier
	s_and_saveexec_b64 s[6:7], s[4:5]
	s_cbranch_execz .LBB1_18
; %bb.15:                               ;   in Loop: Header=BB1_4 Depth=1
	ds_read_b64 v[6:7], v1
	ds_read_b64 v[8:9], v15
	s_waitcnt lgkmcnt(0)
	v_cmp_eq_u64_e32 vcc, v[6:7], v[8:9]
	v_mov_b32_e32 v6, 0
	s_and_saveexec_b64 s[28:29], vcc
	s_cbranch_execz .LBB1_17
; %bb.16:                               ;   in Loop: Header=BB1_4 Depth=1
	ds_read_b32 v6, v16
.LBB1_17:                               ;   in Loop: Header=BB1_4 Depth=1
	s_or_b64 exec, exec, s[28:29]
.LBB1_18:                               ;   in Loop: Header=BB1_4 Depth=1
	s_or_b64 exec, exec, s[6:7]
	s_waitcnt lgkmcnt(0)
	s_barrier
	ds_read_b32 v7, v10
	s_waitcnt lgkmcnt(0)
	v_add_f32_e32 v6, v6, v7
	ds_write_b32 v10, v6
	v_mov_b32_e32 v6, 0
	v_mov_b32_e32 v7, 0
	s_waitcnt lgkmcnt(0)
	s_barrier
	s_and_saveexec_b64 s[6:7], s[22:23]
	s_cbranch_execz .LBB1_22
; %bb.19:                               ;   in Loop: Header=BB1_4 Depth=1
	ds_read_b64 v[8:9], v1
	ds_read_b64 v[32:33], v17
	v_mov_b32_e32 v7, 0
	s_waitcnt lgkmcnt(0)
	v_cmp_eq_u64_e32 vcc, v[8:9], v[32:33]
	s_and_saveexec_b64 s[28:29], vcc
	s_cbranch_execz .LBB1_21
; %bb.20:                               ;   in Loop: Header=BB1_4 Depth=1
	ds_read_b32 v7, v18
.LBB1_21:                               ;   in Loop: Header=BB1_4 Depth=1
	s_or_b64 exec, exec, s[28:29]
.LBB1_22:                               ;   in Loop: Header=BB1_4 Depth=1
	s_or_b64 exec, exec, s[6:7]
	s_waitcnt lgkmcnt(0)
	s_barrier
	ds_read_b32 v8, v10
	s_waitcnt lgkmcnt(0)
	v_add_f32_e32 v7, v7, v8
	ds_write_b32 v10, v7
	s_waitcnt lgkmcnt(0)
	s_barrier
	s_and_saveexec_b64 s[6:7], s[8:9]
	s_cbranch_execz .LBB1_26
; %bb.23:                               ;   in Loop: Header=BB1_4 Depth=1
	ds_read_b64 v[6:7], v1
	ds_read_b64 v[8:9], v19
	s_waitcnt lgkmcnt(0)
	v_cmp_eq_u64_e32 vcc, v[6:7], v[8:9]
	v_mov_b32_e32 v6, 0
	s_and_saveexec_b64 s[28:29], vcc
	s_cbranch_execz .LBB1_25
; %bb.24:                               ;   in Loop: Header=BB1_4 Depth=1
	ds_read_b32 v6, v20
.LBB1_25:                               ;   in Loop: Header=BB1_4 Depth=1
	s_or_b64 exec, exec, s[28:29]
.LBB1_26:                               ;   in Loop: Header=BB1_4 Depth=1
	;; [unrolled: 50-line block ×4, first 2 shown]
	s_or_b64 exec, exec, s[6:7]
	s_waitcnt lgkmcnt(0)
	s_barrier
	ds_read_b32 v7, v10
	s_waitcnt lgkmcnt(0)
	v_add_f32_e32 v6, v6, v7
	ds_write_b32 v10, v6
	v_mov_b32_e32 v6, 0
	s_waitcnt lgkmcnt(0)
	s_barrier
	s_and_saveexec_b64 s[6:7], s[18:19]
	s_cbranch_execz .LBB1_46
; %bb.43:                               ;   in Loop: Header=BB1_4 Depth=1
	ds_read_b64 v[6:7], v1
	ds_read_b64 v[8:9], v29
	s_waitcnt lgkmcnt(0)
	v_cmp_eq_u64_e32 vcc, v[6:7], v[8:9]
	v_mov_b32_e32 v6, 0
	s_and_saveexec_b64 s[28:29], vcc
	s_cbranch_execz .LBB1_45
; %bb.44:                               ;   in Loop: Header=BB1_4 Depth=1
	ds_read_b32 v6, v30
.LBB1_45:                               ;   in Loop: Header=BB1_4 Depth=1
	s_or_b64 exec, exec, s[28:29]
.LBB1_46:                               ;   in Loop: Header=BB1_4 Depth=1
	s_or_b64 exec, exec, s[6:7]
	s_waitcnt lgkmcnt(0)
	s_barrier
	ds_read_b32 v7, v10
	v_pk_mov_b32 v[8:9], -1, -1
	s_waitcnt lgkmcnt(0)
	v_add_f32_e32 v6, v6, v7
	ds_write_b32 v10, v6
	s_waitcnt lgkmcnt(0)
	s_barrier
	ds_read_b64 v[6:7], v1
	s_and_saveexec_b64 s[6:7], s[20:21]
	s_cbranch_execz .LBB1_48
; %bb.47:                               ;   in Loop: Header=BB1_4 Depth=1
	ds_read_b64 v[8:9], v1 offset:8
.LBB1_48:                               ;   in Loop: Header=BB1_4 Depth=1
	s_or_b64 exec, exec, s[6:7]
	s_waitcnt lgkmcnt(0)
	v_cmp_ne_u64_e32 vcc, v[6:7], v[8:9]
	v_cmp_lt_i64_e64 s[6:7], -1, v[6:7]
	s_and_b64 s[28:29], s[6:7], vcc
	s_and_saveexec_b64 s[6:7], s[28:29]
	s_cbranch_execz .LBB1_3
; %bb.49:                               ;   in Loop: Header=BB1_4 Depth=1
	ds_read_b32 v31, v10
	s_and_b64 vcc, exec, s[26:27]
	s_cbranch_vccz .LBB1_51
; %bb.50:                               ;   in Loop: Header=BB1_4 Depth=1
	v_mul_lo_u32 v32, v7, s42
	v_mul_lo_u32 v33, v6, s43
	v_mad_u64_u32 v[8:9], s[28:29], v6, s42, 0
	v_add3_u32 v9, v9, v33, v32
	v_lshlrev_b64 v[8:9], 2, v[8:9]
	v_mov_b32_e32 v32, s34
	v_add_co_u32_e32 v8, vcc, s33, v8
	v_addc_co_u32_e32 v9, vcc, v32, v9, vcc
	s_cbranch_execnz .LBB1_2
	s_branch .LBB1_52
.LBB1_51:                               ;   in Loop: Header=BB1_4 Depth=1
                                        ; implicit-def: $vgpr8_vgpr9
.LBB1_52:                               ;   in Loop: Header=BB1_4 Depth=1
	v_lshlrev_b64 v[6:7], 2, v[6:7]
	v_mov_b32_e32 v9, s40
	v_add_co_u32_e32 v8, vcc, s35, v6
	v_addc_co_u32_e32 v9, vcc, v9, v7, vcc
	s_branch .LBB1_2
.LBB1_53:
	s_endpgm
	.section	.rodata,"a",@progbits
	.p2align	6, 0x0
	.amdhsa_kernel _ZN9rocsparseL28coommnn_general_block_reduceILj1024EflfEEvT1_S1_PKS1_PKT0_PT2_ll16rocsparse_order_
		.amdhsa_group_segment_fixed_size 12288
		.amdhsa_private_segment_fixed_size 0
		.amdhsa_kernarg_size 60
		.amdhsa_user_sgpr_count 6
		.amdhsa_user_sgpr_private_segment_buffer 1
		.amdhsa_user_sgpr_dispatch_ptr 0
		.amdhsa_user_sgpr_queue_ptr 0
		.amdhsa_user_sgpr_kernarg_segment_ptr 1
		.amdhsa_user_sgpr_dispatch_id 0
		.amdhsa_user_sgpr_flat_scratch_init 0
		.amdhsa_user_sgpr_kernarg_preload_length 0
		.amdhsa_user_sgpr_kernarg_preload_offset 0
		.amdhsa_user_sgpr_private_segment_size 0
		.amdhsa_uses_dynamic_stack 0
		.amdhsa_system_sgpr_private_segment_wavefront_offset 0
		.amdhsa_system_sgpr_workgroup_id_x 1
		.amdhsa_system_sgpr_workgroup_id_y 0
		.amdhsa_system_sgpr_workgroup_id_z 1
		.amdhsa_system_sgpr_workgroup_info 0
		.amdhsa_system_vgpr_workitem_id 0
		.amdhsa_next_free_vgpr 34
		.amdhsa_next_free_sgpr 50
		.amdhsa_accum_offset 36
		.amdhsa_reserve_vcc 1
		.amdhsa_reserve_flat_scratch 0
		.amdhsa_float_round_mode_32 0
		.amdhsa_float_round_mode_16_64 0
		.amdhsa_float_denorm_mode_32 3
		.amdhsa_float_denorm_mode_16_64 3
		.amdhsa_dx10_clamp 1
		.amdhsa_ieee_mode 1
		.amdhsa_fp16_overflow 0
		.amdhsa_tg_split 0
		.amdhsa_exception_fp_ieee_invalid_op 0
		.amdhsa_exception_fp_denorm_src 0
		.amdhsa_exception_fp_ieee_div_zero 0
		.amdhsa_exception_fp_ieee_overflow 0
		.amdhsa_exception_fp_ieee_underflow 0
		.amdhsa_exception_fp_ieee_inexact 0
		.amdhsa_exception_int_div_zero 0
	.end_amdhsa_kernel
	.section	.text._ZN9rocsparseL28coommnn_general_block_reduceILj1024EflfEEvT1_S1_PKS1_PKT0_PT2_ll16rocsparse_order_,"axG",@progbits,_ZN9rocsparseL28coommnn_general_block_reduceILj1024EflfEEvT1_S1_PKS1_PKT0_PT2_ll16rocsparse_order_,comdat
.Lfunc_end1:
	.size	_ZN9rocsparseL28coommnn_general_block_reduceILj1024EflfEEvT1_S1_PKS1_PKT0_PT2_ll16rocsparse_order_, .Lfunc_end1-_ZN9rocsparseL28coommnn_general_block_reduceILj1024EflfEEvT1_S1_PKS1_PKT0_PT2_ll16rocsparse_order_
                                        ; -- End function
	.section	.AMDGPU.csdata,"",@progbits
; Kernel info:
; codeLenInByte = 1932
; NumSgprs: 54
; NumVgprs: 34
; NumAgprs: 0
; TotalNumVgprs: 34
; ScratchSize: 0
; MemoryBound: 0
; FloatMode: 240
; IeeeMode: 1
; LDSByteSize: 12288 bytes/workgroup (compile time only)
; SGPRBlocks: 6
; VGPRBlocks: 4
; NumSGPRsForWavesPerEU: 54
; NumVGPRsForWavesPerEU: 34
; AccumOffset: 36
; Occupancy: 8
; WaveLimiterHint : 0
; COMPUTE_PGM_RSRC2:SCRATCH_EN: 0
; COMPUTE_PGM_RSRC2:USER_SGPR: 6
; COMPUTE_PGM_RSRC2:TRAP_HANDLER: 0
; COMPUTE_PGM_RSRC2:TGID_X_EN: 1
; COMPUTE_PGM_RSRC2:TGID_Y_EN: 0
; COMPUTE_PGM_RSRC2:TGID_Z_EN: 1
; COMPUTE_PGM_RSRC2:TIDIG_COMP_CNT: 0
; COMPUTE_PGM_RSRC3_GFX90A:ACCUM_OFFSET: 8
; COMPUTE_PGM_RSRC3_GFX90A:TG_SPLIT: 0
	.section	.text._ZN9rocsparseL28coommnn_general_block_reduceILj1024EdidEEvT1_S1_PKS1_PKT0_PT2_ll16rocsparse_order_,"axG",@progbits,_ZN9rocsparseL28coommnn_general_block_reduceILj1024EdidEEvT1_S1_PKS1_PKT0_PT2_ll16rocsparse_order_,comdat
	.globl	_ZN9rocsparseL28coommnn_general_block_reduceILj1024EdidEEvT1_S1_PKS1_PKT0_PT2_ll16rocsparse_order_ ; -- Begin function _ZN9rocsparseL28coommnn_general_block_reduceILj1024EdidEEvT1_S1_PKS1_PKT0_PT2_ll16rocsparse_order_
	.p2align	8
	.type	_ZN9rocsparseL28coommnn_general_block_reduceILj1024EdidEEvT1_S1_PKS1_PKT0_PT2_ll16rocsparse_order_,@function
_ZN9rocsparseL28coommnn_general_block_reduceILj1024EdidEEvT1_S1_PKS1_PKT0_PT2_ll16rocsparse_order_: ; @_ZN9rocsparseL28coommnn_general_block_reduceILj1024EdidEEvT1_S1_PKS1_PKT0_PT2_ll16rocsparse_order_
; %bb.0:
	s_load_dwordx2 s[34:35], s[4:5], 0x0
	s_waitcnt lgkmcnt(0)
	s_cmp_lt_i32 s35, 1
	s_cbranch_scc1 .LBB2_53
; %bb.1:
	s_load_dwordx8 s[24:31], s[4:5], 0x8
	s_load_dwordx2 s[38:39], s[4:5], 0x28
	s_load_dword s36, s[4:5], 0x30
	s_mul_i32 s0, s7, s34
	s_add_i32 s0, s0, s6
	s_mov_b32 s34, s7
	s_waitcnt lgkmcnt(0)
	s_mul_i32 s39, s34, s39
	s_cmp_lg_u32 s36, 1
	s_cselect_b64 s[36:37], -1, 0
	s_ashr_i32 s40, s34, 31
	s_mul_hi_u32 s41, s34, s38
	s_mul_i32 s42, s7, s35
	s_ashr_i32 s7, s6, 31
	s_add_i32 s39, s41, s39
	s_mul_i32 s40, s40, s38
	s_add_i32 s39, s39, s40
	s_lshl_b64 s[40:41], s[6:7], 3
	s_mul_i32 s38, s34, s38
	s_add_u32 s34, s28, s40
	s_addc_u32 s44, s29, s41
	s_lshl_b64 s[40:41], s[38:39], 3
	s_add_u32 s34, s34, s40
	s_addc_u32 s38, s44, s41
	s_mul_i32 s39, s6, s31
	s_mul_hi_u32 s44, s6, s30
	s_add_i32 s39, s44, s39
	s_mul_i32 s7, s7, s30
	s_add_i32 s7, s39, s7
	s_mul_i32 s6, s6, s30
	s_lshl_b64 s[6:7], s[6:7], 3
	s_add_u32 s6, s28, s6
	s_addc_u32 s7, s29, s7
	v_lshlrev_b32_e32 v2, 2, v0
	s_mul_i32 s43, s0, s35
	v_lshlrev_b32_e32 v8, 3, v0
	s_movk_i32 s14, 0x7f
	s_movk_i32 s16, 0xff
	;; [unrolled: 1-line block ×4, first 2 shown]
	s_add_u32 s39, s6, s40
	v_or_b32_e32 v1, 0x2000, v2
	s_mov_b32 s33, 0
	v_cmp_ne_u32_e64 s[0:1], 0, v0
	v_add_u32_e32 v9, 0x1ffc, v2
	v_add_u32_e32 v10, -8, v8
	v_cmp_lt_u32_e64 s[2:3], 1, v0
	v_add_u32_e32 v11, 0x1ff8, v2
	v_add_u32_e32 v12, -16, v8
	v_cmp_lt_u32_e64 s[4:5], 3, v0
	v_add_u32_e32 v13, 0x1ff0, v2
	v_subrev_u32_e32 v14, 32, v8
	v_cmp_lt_u32_e64 s[22:23], 7, v0
	v_add_u32_e32 v15, 0x1fe0, v2
	v_subrev_u32_e32 v16, 64, v8
	v_cmp_lt_u32_e64 s[8:9], 15, v0
	v_add_u32_e32 v17, 0x1fc0, v2
	v_add_u32_e32 v18, 0xffffff80, v8
	v_cmp_lt_u32_e64 s[10:11], 31, v0
	v_add_u32_e32 v19, 0x1f80, v2
	v_add_u32_e32 v20, 0xffffff00, v8
	;; [unrolled: 3-line block ×6, first 2 shown]
	v_cmp_ne_u32_e64 s[20:21], s20, v0
	s_addc_u32 s40, s7, s41
	v_add_u32_e32 v29, s43, v0
	v_add_u32_e32 v30, s42, v0
	v_mov_b32_e32 v3, 0
	s_branch .LBB2_4
.LBB2_2:                                ;   in Loop: Header=BB2_4 Depth=1
	global_load_dwordx2 v[32:33], v[6:7], off
	s_waitcnt vmcnt(0) lgkmcnt(0)
	v_add_f64 v[4:5], v[4:5], v[32:33]
	global_store_dwordx2 v[6:7], v[4:5], off
.LBB2_3:                                ;   in Loop: Header=BB2_4 Depth=1
	s_or_b64 exec, exec, s[6:7]
	s_addk_i32 s33, 0x400
	s_cmp_ge_i32 s33, s35
	s_barrier
	s_cbranch_scc1 .LBB2_53
.LBB2_4:                                ; =>This Inner Loop Header: Depth=1
	v_add_u32_e32 v2, s33, v0
	v_pk_mov_b32 v[4:5], 0, 0
	v_cmp_gt_i32_e32 vcc, s35, v2
	v_mov_b32_e32 v2, -1
	v_pk_mov_b32 v[6:7], v[4:5], v[4:5] op_sel:[0,1]
	s_and_saveexec_b64 s[6:7], vcc
	s_cbranch_execz .LBB2_6
; %bb.5:                                ;   in Loop: Header=BB2_4 Depth=1
	v_add_u32_e32 v6, s33, v30
	v_ashrrev_i32_e32 v7, 31, v6
	v_lshlrev_b64 v[6:7], 2, v[6:7]
	v_mov_b32_e32 v2, s25
	v_add_co_u32_e32 v6, vcc, s24, v6
	v_addc_co_u32_e32 v7, vcc, v2, v7, vcc
	global_load_dword v2, v[6:7], off
	v_add_u32_e32 v6, s33, v29
	v_ashrrev_i32_e32 v7, 31, v6
	v_lshlrev_b64 v[6:7], 3, v[6:7]
	v_mov_b32_e32 v31, s27
	v_add_co_u32_e32 v6, vcc, s26, v6
	v_addc_co_u32_e32 v7, vcc, v31, v7, vcc
	global_load_dwordx2 v[6:7], v[6:7], off
.LBB2_6:                                ;   in Loop: Header=BB2_4 Depth=1
	s_or_b64 exec, exec, s[6:7]
	s_waitcnt vmcnt(1)
	ds_write_b32 v1, v2
	s_waitcnt vmcnt(0)
	ds_write_b64 v8, v[6:7]
	s_waitcnt lgkmcnt(0)
	s_barrier
	s_and_saveexec_b64 s[6:7], s[0:1]
	s_cbranch_execz .LBB2_10
; %bb.7:                                ;   in Loop: Header=BB2_4 Depth=1
	ds_read2_b32 v[4:5], v9 offset1:1
	s_waitcnt lgkmcnt(0)
	v_cmp_eq_u32_e32 vcc, v5, v4
	v_pk_mov_b32 v[4:5], 0, 0
	s_and_saveexec_b64 s[28:29], vcc
	s_cbranch_execz .LBB2_9
; %bb.8:                                ;   in Loop: Header=BB2_4 Depth=1
	ds_read_b64 v[4:5], v10
.LBB2_9:                                ;   in Loop: Header=BB2_4 Depth=1
	s_or_b64 exec, exec, s[28:29]
.LBB2_10:                               ;   in Loop: Header=BB2_4 Depth=1
	s_or_b64 exec, exec, s[6:7]
	s_waitcnt lgkmcnt(0)
	s_barrier
	ds_read_b64 v[6:7], v8
	s_waitcnt lgkmcnt(0)
	v_add_f64 v[4:5], v[4:5], v[6:7]
	ds_write_b64 v8, v[4:5]
	v_pk_mov_b32 v[4:5], 0, 0
	v_pk_mov_b32 v[6:7], v[4:5], v[4:5] op_sel:[0,1]
	s_waitcnt lgkmcnt(0)
	s_barrier
	s_and_saveexec_b64 s[6:7], s[2:3]
	s_cbranch_execz .LBB2_14
; %bb.11:                               ;   in Loop: Header=BB2_4 Depth=1
	ds_read_b32 v2, v1
	ds_read_b32 v6, v11
	s_waitcnt lgkmcnt(0)
	v_cmp_eq_u32_e32 vcc, v2, v6
	v_pk_mov_b32 v[6:7], 0, 0
	s_and_saveexec_b64 s[28:29], vcc
	s_cbranch_execz .LBB2_13
; %bb.12:                               ;   in Loop: Header=BB2_4 Depth=1
	ds_read_b64 v[6:7], v12
.LBB2_13:                               ;   in Loop: Header=BB2_4 Depth=1
	s_or_b64 exec, exec, s[28:29]
.LBB2_14:                               ;   in Loop: Header=BB2_4 Depth=1
	s_or_b64 exec, exec, s[6:7]
	s_waitcnt lgkmcnt(0)
	s_barrier
	ds_read_b64 v[32:33], v8
	s_waitcnt lgkmcnt(0)
	v_add_f64 v[6:7], v[6:7], v[32:33]
	ds_write_b64 v8, v[6:7]
	s_waitcnt lgkmcnt(0)
	s_barrier
	s_and_saveexec_b64 s[6:7], s[4:5]
	s_cbranch_execz .LBB2_18
; %bb.15:                               ;   in Loop: Header=BB2_4 Depth=1
	ds_read_b32 v2, v1
	ds_read_b32 v4, v13
	s_waitcnt lgkmcnt(0)
	v_cmp_eq_u32_e32 vcc, v2, v4
	v_pk_mov_b32 v[4:5], 0, 0
	s_and_saveexec_b64 s[28:29], vcc
	s_cbranch_execz .LBB2_17
; %bb.16:                               ;   in Loop: Header=BB2_4 Depth=1
	ds_read_b64 v[4:5], v14
.LBB2_17:                               ;   in Loop: Header=BB2_4 Depth=1
	s_or_b64 exec, exec, s[28:29]
.LBB2_18:                               ;   in Loop: Header=BB2_4 Depth=1
	s_or_b64 exec, exec, s[6:7]
	s_waitcnt lgkmcnt(0)
	s_barrier
	ds_read_b64 v[6:7], v8
	s_waitcnt lgkmcnt(0)
	v_add_f64 v[4:5], v[4:5], v[6:7]
	ds_write_b64 v8, v[4:5]
	v_pk_mov_b32 v[4:5], 0, 0
	v_pk_mov_b32 v[6:7], v[4:5], v[4:5] op_sel:[0,1]
	s_waitcnt lgkmcnt(0)
	s_barrier
	s_and_saveexec_b64 s[6:7], s[22:23]
	s_cbranch_execz .LBB2_22
; %bb.19:                               ;   in Loop: Header=BB2_4 Depth=1
	ds_read_b32 v2, v1
	ds_read_b32 v6, v15
	s_waitcnt lgkmcnt(0)
	v_cmp_eq_u32_e32 vcc, v2, v6
	v_pk_mov_b32 v[6:7], 0, 0
	s_and_saveexec_b64 s[28:29], vcc
	s_cbranch_execz .LBB2_21
; %bb.20:                               ;   in Loop: Header=BB2_4 Depth=1
	ds_read_b64 v[6:7], v16
.LBB2_21:                               ;   in Loop: Header=BB2_4 Depth=1
	s_or_b64 exec, exec, s[28:29]
.LBB2_22:                               ;   in Loop: Header=BB2_4 Depth=1
	s_or_b64 exec, exec, s[6:7]
	s_waitcnt lgkmcnt(0)
	s_barrier
	ds_read_b64 v[32:33], v8
	s_waitcnt lgkmcnt(0)
	v_add_f64 v[6:7], v[6:7], v[32:33]
	ds_write_b64 v8, v[6:7]
	s_waitcnt lgkmcnt(0)
	s_barrier
	s_and_saveexec_b64 s[6:7], s[8:9]
	s_cbranch_execz .LBB2_26
; %bb.23:                               ;   in Loop: Header=BB2_4 Depth=1
	ds_read_b32 v2, v1
	ds_read_b32 v4, v17
	s_waitcnt lgkmcnt(0)
	v_cmp_eq_u32_e32 vcc, v2, v4
	v_pk_mov_b32 v[4:5], 0, 0
	s_and_saveexec_b64 s[28:29], vcc
	s_cbranch_execz .LBB2_25
; %bb.24:                               ;   in Loop: Header=BB2_4 Depth=1
	ds_read_b64 v[4:5], v18
.LBB2_25:                               ;   in Loop: Header=BB2_4 Depth=1
	s_or_b64 exec, exec, s[28:29]
.LBB2_26:                               ;   in Loop: Header=BB2_4 Depth=1
	;; [unrolled: 50-line block ×4, first 2 shown]
	s_or_b64 exec, exec, s[6:7]
	s_waitcnt lgkmcnt(0)
	s_barrier
	ds_read_b64 v[6:7], v8
	s_waitcnt lgkmcnt(0)
	v_add_f64 v[4:5], v[4:5], v[6:7]
	ds_write_b64 v8, v[4:5]
	v_pk_mov_b32 v[4:5], 0, 0
	s_waitcnt lgkmcnt(0)
	s_barrier
	s_and_saveexec_b64 s[6:7], s[18:19]
	s_cbranch_execz .LBB2_46
; %bb.43:                               ;   in Loop: Header=BB2_4 Depth=1
	ds_read_b32 v2, v1
	ds_read_b32 v4, v27
	s_waitcnt lgkmcnt(0)
	v_cmp_eq_u32_e32 vcc, v2, v4
	v_pk_mov_b32 v[4:5], 0, 0
	s_and_saveexec_b64 s[28:29], vcc
	s_cbranch_execz .LBB2_45
; %bb.44:                               ;   in Loop: Header=BB2_4 Depth=1
	ds_read_b64 v[4:5], v28
.LBB2_45:                               ;   in Loop: Header=BB2_4 Depth=1
	s_or_b64 exec, exec, s[28:29]
.LBB2_46:                               ;   in Loop: Header=BB2_4 Depth=1
	s_or_b64 exec, exec, s[6:7]
	s_waitcnt lgkmcnt(0)
	s_barrier
	ds_read_b64 v[6:7], v8
	s_waitcnt lgkmcnt(0)
	v_add_f64 v[4:5], v[4:5], v[6:7]
	ds_write_b64 v8, v[4:5]
	s_waitcnt lgkmcnt(0)
	s_barrier
	ds_read_b32 v2, v1
	v_mov_b32_e32 v4, -1
	s_and_saveexec_b64 s[6:7], s[20:21]
	s_cbranch_execz .LBB2_48
; %bb.47:                               ;   in Loop: Header=BB2_4 Depth=1
	ds_read_b32 v4, v1 offset:4
.LBB2_48:                               ;   in Loop: Header=BB2_4 Depth=1
	s_or_b64 exec, exec, s[6:7]
	s_waitcnt lgkmcnt(0)
	v_cmp_ne_u32_e32 vcc, v2, v4
	v_cmp_lt_i32_e64 s[6:7], -1, v2
	s_and_b64 s[28:29], s[6:7], vcc
	s_and_saveexec_b64 s[6:7], s[28:29]
	s_cbranch_execz .LBB2_3
; %bb.49:                               ;   in Loop: Header=BB2_4 Depth=1
	ds_read_b64 v[4:5], v8
	s_and_b64 vcc, exec, s[36:37]
	s_cbranch_vccz .LBB2_51
; %bb.50:                               ;   in Loop: Header=BB2_4 Depth=1
	v_mad_u64_u32 v[6:7], s[28:29], v2, s30, 0
	v_mov_b32_e32 v32, v7
	v_mad_u64_u32 v[32:33], s[28:29], v2, s31, v[32:33]
	v_mov_b32_e32 v7, v32
	v_lshlrev_b64 v[6:7], 3, v[6:7]
	v_mov_b32_e32 v31, s38
	v_add_co_u32_e32 v6, vcc, s34, v6
	v_addc_co_u32_e32 v7, vcc, v31, v7, vcc
	s_cbranch_execnz .LBB2_2
	s_branch .LBB2_52
.LBB2_51:                               ;   in Loop: Header=BB2_4 Depth=1
                                        ; implicit-def: $vgpr6_vgpr7
.LBB2_52:                               ;   in Loop: Header=BB2_4 Depth=1
	v_lshlrev_b64 v[6:7], 3, v[2:3]
	v_mov_b32_e32 v2, s40
	v_add_co_u32_e32 v6, vcc, s39, v6
	v_addc_co_u32_e32 v7, vcc, v2, v7, vcc
	s_branch .LBB2_2
.LBB2_53:
	s_endpgm
	.section	.rodata,"a",@progbits
	.p2align	6, 0x0
	.amdhsa_kernel _ZN9rocsparseL28coommnn_general_block_reduceILj1024EdidEEvT1_S1_PKS1_PKT0_PT2_ll16rocsparse_order_
		.amdhsa_group_segment_fixed_size 12288
		.amdhsa_private_segment_fixed_size 0
		.amdhsa_kernarg_size 52
		.amdhsa_user_sgpr_count 6
		.amdhsa_user_sgpr_private_segment_buffer 1
		.amdhsa_user_sgpr_dispatch_ptr 0
		.amdhsa_user_sgpr_queue_ptr 0
		.amdhsa_user_sgpr_kernarg_segment_ptr 1
		.amdhsa_user_sgpr_dispatch_id 0
		.amdhsa_user_sgpr_flat_scratch_init 0
		.amdhsa_user_sgpr_kernarg_preload_length 0
		.amdhsa_user_sgpr_kernarg_preload_offset 0
		.amdhsa_user_sgpr_private_segment_size 0
		.amdhsa_uses_dynamic_stack 0
		.amdhsa_system_sgpr_private_segment_wavefront_offset 0
		.amdhsa_system_sgpr_workgroup_id_x 1
		.amdhsa_system_sgpr_workgroup_id_y 0
		.amdhsa_system_sgpr_workgroup_id_z 1
		.amdhsa_system_sgpr_workgroup_info 0
		.amdhsa_system_vgpr_workitem_id 0
		.amdhsa_next_free_vgpr 34
		.amdhsa_next_free_sgpr 45
		.amdhsa_accum_offset 36
		.amdhsa_reserve_vcc 1
		.amdhsa_reserve_flat_scratch 0
		.amdhsa_float_round_mode_32 0
		.amdhsa_float_round_mode_16_64 0
		.amdhsa_float_denorm_mode_32 3
		.amdhsa_float_denorm_mode_16_64 3
		.amdhsa_dx10_clamp 1
		.amdhsa_ieee_mode 1
		.amdhsa_fp16_overflow 0
		.amdhsa_tg_split 0
		.amdhsa_exception_fp_ieee_invalid_op 0
		.amdhsa_exception_fp_denorm_src 0
		.amdhsa_exception_fp_ieee_div_zero 0
		.amdhsa_exception_fp_ieee_overflow 0
		.amdhsa_exception_fp_ieee_underflow 0
		.amdhsa_exception_fp_ieee_inexact 0
		.amdhsa_exception_int_div_zero 0
	.end_amdhsa_kernel
	.section	.text._ZN9rocsparseL28coommnn_general_block_reduceILj1024EdidEEvT1_S1_PKS1_PKT0_PT2_ll16rocsparse_order_,"axG",@progbits,_ZN9rocsparseL28coommnn_general_block_reduceILj1024EdidEEvT1_S1_PKS1_PKT0_PT2_ll16rocsparse_order_,comdat
.Lfunc_end2:
	.size	_ZN9rocsparseL28coommnn_general_block_reduceILj1024EdidEEvT1_S1_PKS1_PKT0_PT2_ll16rocsparse_order_, .Lfunc_end2-_ZN9rocsparseL28coommnn_general_block_reduceILj1024EdidEEvT1_S1_PKS1_PKT0_PT2_ll16rocsparse_order_
                                        ; -- End function
	.section	.AMDGPU.csdata,"",@progbits
; Kernel info:
; codeLenInByte = 1952
; NumSgprs: 49
; NumVgprs: 34
; NumAgprs: 0
; TotalNumVgprs: 34
; ScratchSize: 0
; MemoryBound: 0
; FloatMode: 240
; IeeeMode: 1
; LDSByteSize: 12288 bytes/workgroup (compile time only)
; SGPRBlocks: 6
; VGPRBlocks: 4
; NumSGPRsForWavesPerEU: 49
; NumVGPRsForWavesPerEU: 34
; AccumOffset: 36
; Occupancy: 8
; WaveLimiterHint : 0
; COMPUTE_PGM_RSRC2:SCRATCH_EN: 0
; COMPUTE_PGM_RSRC2:USER_SGPR: 6
; COMPUTE_PGM_RSRC2:TRAP_HANDLER: 0
; COMPUTE_PGM_RSRC2:TGID_X_EN: 1
; COMPUTE_PGM_RSRC2:TGID_Y_EN: 0
; COMPUTE_PGM_RSRC2:TGID_Z_EN: 1
; COMPUTE_PGM_RSRC2:TIDIG_COMP_CNT: 0
; COMPUTE_PGM_RSRC3_GFX90A:ACCUM_OFFSET: 8
; COMPUTE_PGM_RSRC3_GFX90A:TG_SPLIT: 0
	.section	.text._ZN9rocsparseL28coommnn_general_block_reduceILj1024EdldEEvT1_S1_PKS1_PKT0_PT2_ll16rocsparse_order_,"axG",@progbits,_ZN9rocsparseL28coommnn_general_block_reduceILj1024EdldEEvT1_S1_PKS1_PKT0_PT2_ll16rocsparse_order_,comdat
	.globl	_ZN9rocsparseL28coommnn_general_block_reduceILj1024EdldEEvT1_S1_PKS1_PKT0_PT2_ll16rocsparse_order_ ; -- Begin function _ZN9rocsparseL28coommnn_general_block_reduceILj1024EdldEEvT1_S1_PKS1_PKT0_PT2_ll16rocsparse_order_
	.p2align	8
	.type	_ZN9rocsparseL28coommnn_general_block_reduceILj1024EdldEEvT1_S1_PKS1_PKT0_PT2_ll16rocsparse_order_,@function
_ZN9rocsparseL28coommnn_general_block_reduceILj1024EdldEEvT1_S1_PKS1_PKT0_PT2_ll16rocsparse_order_: ; @_ZN9rocsparseL28coommnn_general_block_reduceILj1024EdldEEvT1_S1_PKS1_PKT0_PT2_ll16rocsparse_order_
; %bb.0:
	s_load_dwordx4 s[28:31], s[4:5], 0x0
	s_waitcnt lgkmcnt(0)
	v_cmp_lt_i64_e64 s[0:1], s[30:31], 1
	s_and_b64 vcc, exec, s[0:1]
	s_cbranch_vccnz .LBB3_53
; %bb.1:
	s_load_dwordx8 s[36:43], s[4:5], 0x10
	s_load_dwordx2 s[34:35], s[4:5], 0x30
	s_load_dword s25, s[4:5], 0x38
	s_mov_b32 s24, s7
	s_mov_b32 s7, 0
	s_lshl_b64 s[44:45], s[6:7], 3
	s_waitcnt lgkmcnt(0)
	s_add_u32 s7, s40, s44
	s_addc_u32 s48, s41, s45
	s_ashr_i32 s49, s24, 31
	s_cmp_lg_u32 s25, 1
	s_mul_i32 s25, s24, s35
	s_mul_hi_u32 s33, s24, s34
	s_cselect_b64 s[26:27], -1, 0
	s_add_i32 s25, s33, s25
	s_mul_i32 s33, s49, s34
	s_add_i32 s35, s25, s33
	s_mul_i32 s34, s24, s34
	s_lshl_b64 s[46:47], s[34:35], 3
	s_add_u32 s33, s7, s46
	s_mul_i32 s7, s6, s43
	s_mul_hi_u32 s25, s6, s42
	s_addc_u32 s34, s48, s47
	s_add_i32 s7, s25, s7
	s_mul_i32 s6, s6, s42
	s_lshl_b64 s[6:7], s[6:7], 3
	s_add_u32 s6, s40, s6
	s_addc_u32 s7, s41, s7
	s_add_u32 s35, s6, s46
	s_addc_u32 s40, s7, s47
	s_mul_hi_u32 s6, s28, s24
	s_mul_i32 s7, s28, s49
	s_add_i32 s6, s6, s7
	s_mul_i32 s7, s29, s24
	s_add_i32 s7, s6, s7
	s_mul_i32 s6, s28, s24
	s_lshl_b64 s[6:7], s[6:7], 3
	s_add_u32 s6, s6, s44
	s_addc_u32 s7, s7, s45
	s_mul_i32 s7, s30, s7
	s_mul_hi_u32 s25, s30, s6
	s_add_i32 s7, s25, s7
	s_mul_i32 s25, s31, s6
	s_add_i32 s7, s7, s25
	s_mul_i32 s6, s30, s6
	s_add_u32 s6, s38, s6
	v_lshlrev_b32_e32 v1, 3, v0
	s_addc_u32 s7, s39, s7
	v_mov_b32_e32 v3, s7
	v_add_co_u32_e32 v2, vcc, s6, v1
	s_mul_hi_u32 s6, s30, s24
	s_mul_i32 s7, s30, s49
	s_add_i32 s6, s6, s7
	s_mul_i32 s7, s31, s24
	s_add_i32 s7, s6, s7
	s_mul_i32 s6, s30, s24
	s_lshl_b64 s[6:7], s[6:7], 3
	s_add_u32 s6, s36, s6
	v_addc_co_u32_e32 v3, vcc, 0, v3, vcc
	s_addc_u32 s7, s37, s7
	s_movk_i32 s14, 0x7f
	s_movk_i32 s16, 0xff
	;; [unrolled: 1-line block ×4, first 2 shown]
	v_mov_b32_e32 v5, s7
	v_add_co_u32_e32 v4, vcc, s6, v1
	v_or_b32_e32 v12, 0x2000, v1
	v_cmp_ne_u32_e64 s[0:1], 0, v0
	v_add_u32_e32 v13, -8, v1
	v_add_u32_e32 v14, 0x1ff8, v1
	v_cmp_lt_u32_e64 s[2:3], 1, v0
	v_add_u32_e32 v15, -16, v1
	v_add_u32_e32 v16, 0x1ff0, v1
	v_cmp_lt_u32_e64 s[4:5], 3, v0
	v_subrev_u32_e32 v17, 32, v1
	v_add_u32_e32 v18, 0x1fe0, v1
	v_cmp_lt_u32_e64 s[22:23], 7, v0
	v_subrev_u32_e32 v19, 64, v1
	v_add_u32_e32 v20, 0x1fc0, v1
	v_cmp_lt_u32_e64 s[8:9], 15, v0
	v_add_u32_e32 v21, 0xffffff80, v1
	v_add_u32_e32 v22, 0x1f80, v1
	v_cmp_lt_u32_e64 s[10:11], 31, v0
	v_add_u32_e32 v23, 0xffffff00, v1
	;; [unrolled: 3-line block ×6, first 2 shown]
	v_add_u32_e32 v32, 0x1000, v1
	v_cmp_ne_u32_e64 s[20:21], s20, v0
	v_addc_co_u32_e32 v5, vcc, 0, v5, vcc
	s_mov_b64 s[24:25], 0
	s_branch .LBB3_4
.LBB3_2:                                ;   in Loop: Header=BB3_4 Depth=1
	global_load_dwordx2 v[6:7], v[10:11], off
	s_waitcnt vmcnt(0) lgkmcnt(0)
	v_add_f64 v[6:7], v[8:9], v[6:7]
	global_store_dwordx2 v[10:11], v[6:7], off
.LBB3_3:                                ;   in Loop: Header=BB3_4 Depth=1
	s_or_b64 exec, exec, s[6:7]
	v_add_co_u32_e32 v2, vcc, 0x2000, v2
	v_addc_co_u32_e32 v3, vcc, 0, v3, vcc
	s_add_u32 s24, s24, 0x400
	v_add_co_u32_e32 v4, vcc, 0x2000, v4
	s_addc_u32 s25, s25, 0
	v_addc_co_u32_e32 v5, vcc, 0, v5, vcc
	v_pk_mov_b32 v[6:7], s[30:31], s[30:31] op_sel:[0,1]
	v_cmp_ge_i64_e32 vcc, s[24:25], v[6:7]
	s_barrier
	s_cbranch_vccnz .LBB3_53
.LBB3_4:                                ; =>This Inner Loop Header: Depth=1
	v_mov_b32_e32 v7, s25
	v_add_co_u32_e32 v6, vcc, s24, v0
	v_addc_co_u32_e32 v7, vcc, 0, v7, vcc
	v_cmp_gt_i64_e32 vcc, s[30:31], v[6:7]
	v_pk_mov_b32 v[6:7], 0, 0
	v_pk_mov_b32 v[8:9], -1, -1
	v_pk_mov_b32 v[10:11], v[6:7], v[6:7] op_sel:[0,1]
	s_and_saveexec_b64 s[6:7], vcc
	s_cbranch_execz .LBB3_6
; %bb.5:                                ;   in Loop: Header=BB3_4 Depth=1
	global_load_dwordx2 v[8:9], v[4:5], off
	global_load_dwordx2 v[10:11], v[2:3], off
.LBB3_6:                                ;   in Loop: Header=BB3_4 Depth=1
	s_or_b64 exec, exec, s[6:7]
	s_waitcnt vmcnt(1)
	ds_write_b64 v1, v[8:9]
	s_waitcnt vmcnt(0)
	ds_write_b64 v12, v[10:11]
	s_waitcnt lgkmcnt(0)
	s_barrier
	s_and_saveexec_b64 s[6:7], s[0:1]
	s_cbranch_execz .LBB3_10
; %bb.7:                                ;   in Loop: Header=BB3_4 Depth=1
	ds_read2_b64 v[6:9], v13 offset1:1
	s_waitcnt lgkmcnt(0)
	v_cmp_eq_u64_e32 vcc, v[8:9], v[6:7]
	v_pk_mov_b32 v[6:7], 0, 0
	s_and_saveexec_b64 s[28:29], vcc
	s_cbranch_execz .LBB3_9
; %bb.8:                                ;   in Loop: Header=BB3_4 Depth=1
	ds_read_b64 v[6:7], v14
.LBB3_9:                                ;   in Loop: Header=BB3_4 Depth=1
	s_or_b64 exec, exec, s[28:29]
.LBB3_10:                               ;   in Loop: Header=BB3_4 Depth=1
	s_or_b64 exec, exec, s[6:7]
	s_waitcnt lgkmcnt(0)
	s_barrier
	ds_read_b64 v[8:9], v12
	s_waitcnt lgkmcnt(0)
	v_add_f64 v[6:7], v[6:7], v[8:9]
	ds_write_b64 v12, v[6:7]
	v_pk_mov_b32 v[6:7], 0, 0
	v_pk_mov_b32 v[8:9], v[6:7], v[6:7] op_sel:[0,1]
	s_waitcnt lgkmcnt(0)
	s_barrier
	s_and_saveexec_b64 s[6:7], s[2:3]
	s_cbranch_execz .LBB3_14
; %bb.11:                               ;   in Loop: Header=BB3_4 Depth=1
	ds_read_b64 v[8:9], v1
	ds_read_b64 v[10:11], v15
	s_waitcnt lgkmcnt(0)
	v_cmp_eq_u64_e32 vcc, v[8:9], v[10:11]
	v_pk_mov_b32 v[8:9], 0, 0
	s_and_saveexec_b64 s[28:29], vcc
	s_cbranch_execz .LBB3_13
; %bb.12:                               ;   in Loop: Header=BB3_4 Depth=1
	ds_read_b64 v[8:9], v16
.LBB3_13:                               ;   in Loop: Header=BB3_4 Depth=1
	s_or_b64 exec, exec, s[28:29]
.LBB3_14:                               ;   in Loop: Header=BB3_4 Depth=1
	s_or_b64 exec, exec, s[6:7]
	s_waitcnt lgkmcnt(0)
	s_barrier
	ds_read_b64 v[10:11], v12
	s_waitcnt lgkmcnt(0)
	v_add_f64 v[8:9], v[8:9], v[10:11]
	ds_write_b64 v12, v[8:9]
	s_waitcnt lgkmcnt(0)
	s_barrier
	s_and_saveexec_b64 s[6:7], s[4:5]
	s_cbranch_execz .LBB3_18
; %bb.15:                               ;   in Loop: Header=BB3_4 Depth=1
	ds_read_b64 v[6:7], v1
	ds_read_b64 v[8:9], v17
	s_waitcnt lgkmcnt(0)
	v_cmp_eq_u64_e32 vcc, v[6:7], v[8:9]
	v_pk_mov_b32 v[6:7], 0, 0
	s_and_saveexec_b64 s[28:29], vcc
	s_cbranch_execz .LBB3_17
; %bb.16:                               ;   in Loop: Header=BB3_4 Depth=1
	ds_read_b64 v[6:7], v18
.LBB3_17:                               ;   in Loop: Header=BB3_4 Depth=1
	s_or_b64 exec, exec, s[28:29]
.LBB3_18:                               ;   in Loop: Header=BB3_4 Depth=1
	s_or_b64 exec, exec, s[6:7]
	s_waitcnt lgkmcnt(0)
	s_barrier
	ds_read_b64 v[8:9], v12
	s_waitcnt lgkmcnt(0)
	v_add_f64 v[6:7], v[6:7], v[8:9]
	ds_write_b64 v12, v[6:7]
	v_pk_mov_b32 v[6:7], 0, 0
	v_pk_mov_b32 v[8:9], v[6:7], v[6:7] op_sel:[0,1]
	s_waitcnt lgkmcnt(0)
	s_barrier
	s_and_saveexec_b64 s[6:7], s[22:23]
	s_cbranch_execz .LBB3_22
; %bb.19:                               ;   in Loop: Header=BB3_4 Depth=1
	ds_read_b64 v[8:9], v1
	ds_read_b64 v[10:11], v19
	s_waitcnt lgkmcnt(0)
	v_cmp_eq_u64_e32 vcc, v[8:9], v[10:11]
	v_pk_mov_b32 v[8:9], 0, 0
	s_and_saveexec_b64 s[28:29], vcc
	s_cbranch_execz .LBB3_21
; %bb.20:                               ;   in Loop: Header=BB3_4 Depth=1
	ds_read_b64 v[8:9], v20
.LBB3_21:                               ;   in Loop: Header=BB3_4 Depth=1
	s_or_b64 exec, exec, s[28:29]
.LBB3_22:                               ;   in Loop: Header=BB3_4 Depth=1
	s_or_b64 exec, exec, s[6:7]
	s_waitcnt lgkmcnt(0)
	s_barrier
	ds_read_b64 v[10:11], v12
	s_waitcnt lgkmcnt(0)
	v_add_f64 v[8:9], v[8:9], v[10:11]
	ds_write_b64 v12, v[8:9]
	s_waitcnt lgkmcnt(0)
	s_barrier
	s_and_saveexec_b64 s[6:7], s[8:9]
	s_cbranch_execz .LBB3_26
; %bb.23:                               ;   in Loop: Header=BB3_4 Depth=1
	ds_read_b64 v[6:7], v1
	ds_read_b64 v[8:9], v21
	s_waitcnt lgkmcnt(0)
	v_cmp_eq_u64_e32 vcc, v[6:7], v[8:9]
	v_pk_mov_b32 v[6:7], 0, 0
	s_and_saveexec_b64 s[28:29], vcc
	s_cbranch_execz .LBB3_25
; %bb.24:                               ;   in Loop: Header=BB3_4 Depth=1
	ds_read_b64 v[6:7], v22
.LBB3_25:                               ;   in Loop: Header=BB3_4 Depth=1
	s_or_b64 exec, exec, s[28:29]
.LBB3_26:                               ;   in Loop: Header=BB3_4 Depth=1
	;; [unrolled: 50-line block ×4, first 2 shown]
	s_or_b64 exec, exec, s[6:7]
	s_waitcnt lgkmcnt(0)
	s_barrier
	ds_read_b64 v[8:9], v12
	s_waitcnt lgkmcnt(0)
	v_add_f64 v[6:7], v[6:7], v[8:9]
	ds_write_b64 v12, v[6:7]
	v_pk_mov_b32 v[6:7], 0, 0
	s_waitcnt lgkmcnt(0)
	s_barrier
	s_and_saveexec_b64 s[6:7], s[18:19]
	s_cbranch_execz .LBB3_46
; %bb.43:                               ;   in Loop: Header=BB3_4 Depth=1
	ds_read_b64 v[6:7], v1
	ds_read_b64 v[8:9], v31
	s_waitcnt lgkmcnt(0)
	v_cmp_eq_u64_e32 vcc, v[6:7], v[8:9]
	v_pk_mov_b32 v[6:7], 0, 0
	s_and_saveexec_b64 s[28:29], vcc
	s_cbranch_execz .LBB3_45
; %bb.44:                               ;   in Loop: Header=BB3_4 Depth=1
	ds_read_b64 v[6:7], v32
.LBB3_45:                               ;   in Loop: Header=BB3_4 Depth=1
	s_or_b64 exec, exec, s[28:29]
.LBB3_46:                               ;   in Loop: Header=BB3_4 Depth=1
	s_or_b64 exec, exec, s[6:7]
	s_waitcnt lgkmcnt(0)
	s_barrier
	ds_read_b64 v[8:9], v12
	s_waitcnt lgkmcnt(0)
	v_add_f64 v[6:7], v[6:7], v[8:9]
	ds_write_b64 v12, v[6:7]
	s_waitcnt lgkmcnt(0)
	s_barrier
	ds_read_b64 v[6:7], v1
	v_pk_mov_b32 v[8:9], -1, -1
	s_and_saveexec_b64 s[6:7], s[20:21]
	s_cbranch_execz .LBB3_48
; %bb.47:                               ;   in Loop: Header=BB3_4 Depth=1
	ds_read_b64 v[8:9], v1 offset:8
.LBB3_48:                               ;   in Loop: Header=BB3_4 Depth=1
	s_or_b64 exec, exec, s[6:7]
	s_waitcnt lgkmcnt(0)
	v_cmp_ne_u64_e32 vcc, v[6:7], v[8:9]
	v_cmp_lt_i64_e64 s[6:7], -1, v[6:7]
	s_and_b64 s[28:29], s[6:7], vcc
	s_and_saveexec_b64 s[6:7], s[28:29]
	s_cbranch_execz .LBB3_3
; %bb.49:                               ;   in Loop: Header=BB3_4 Depth=1
	ds_read_b64 v[8:9], v12
	s_and_b64 vcc, exec, s[26:27]
	s_cbranch_vccz .LBB3_51
; %bb.50:                               ;   in Loop: Header=BB3_4 Depth=1
	v_mul_lo_u32 v33, v7, s42
	v_mul_lo_u32 v34, v6, s43
	v_mad_u64_u32 v[10:11], s[28:29], v6, s42, 0
	v_add3_u32 v11, v11, v34, v33
	v_lshlrev_b64 v[10:11], 3, v[10:11]
	v_mov_b32_e32 v33, s34
	v_add_co_u32_e32 v10, vcc, s33, v10
	v_addc_co_u32_e32 v11, vcc, v33, v11, vcc
	s_cbranch_execnz .LBB3_2
	s_branch .LBB3_52
.LBB3_51:                               ;   in Loop: Header=BB3_4 Depth=1
                                        ; implicit-def: $vgpr10_vgpr11
.LBB3_52:                               ;   in Loop: Header=BB3_4 Depth=1
	v_lshlrev_b64 v[6:7], 3, v[6:7]
	v_mov_b32_e32 v11, s40
	v_add_co_u32_e32 v10, vcc, s35, v6
	v_addc_co_u32_e32 v11, vcc, v11, v7, vcc
	s_branch .LBB3_2
.LBB3_53:
	s_endpgm
	.section	.rodata,"a",@progbits
	.p2align	6, 0x0
	.amdhsa_kernel _ZN9rocsparseL28coommnn_general_block_reduceILj1024EdldEEvT1_S1_PKS1_PKT0_PT2_ll16rocsparse_order_
		.amdhsa_group_segment_fixed_size 16384
		.amdhsa_private_segment_fixed_size 0
		.amdhsa_kernarg_size 60
		.amdhsa_user_sgpr_count 6
		.amdhsa_user_sgpr_private_segment_buffer 1
		.amdhsa_user_sgpr_dispatch_ptr 0
		.amdhsa_user_sgpr_queue_ptr 0
		.amdhsa_user_sgpr_kernarg_segment_ptr 1
		.amdhsa_user_sgpr_dispatch_id 0
		.amdhsa_user_sgpr_flat_scratch_init 0
		.amdhsa_user_sgpr_kernarg_preload_length 0
		.amdhsa_user_sgpr_kernarg_preload_offset 0
		.amdhsa_user_sgpr_private_segment_size 0
		.amdhsa_uses_dynamic_stack 0
		.amdhsa_system_sgpr_private_segment_wavefront_offset 0
		.amdhsa_system_sgpr_workgroup_id_x 1
		.amdhsa_system_sgpr_workgroup_id_y 0
		.amdhsa_system_sgpr_workgroup_id_z 1
		.amdhsa_system_sgpr_workgroup_info 0
		.amdhsa_system_vgpr_workitem_id 0
		.amdhsa_next_free_vgpr 35
		.amdhsa_next_free_sgpr 50
		.amdhsa_accum_offset 36
		.amdhsa_reserve_vcc 1
		.amdhsa_reserve_flat_scratch 0
		.amdhsa_float_round_mode_32 0
		.amdhsa_float_round_mode_16_64 0
		.amdhsa_float_denorm_mode_32 3
		.amdhsa_float_denorm_mode_16_64 3
		.amdhsa_dx10_clamp 1
		.amdhsa_ieee_mode 1
		.amdhsa_fp16_overflow 0
		.amdhsa_tg_split 0
		.amdhsa_exception_fp_ieee_invalid_op 0
		.amdhsa_exception_fp_denorm_src 0
		.amdhsa_exception_fp_ieee_div_zero 0
		.amdhsa_exception_fp_ieee_overflow 0
		.amdhsa_exception_fp_ieee_underflow 0
		.amdhsa_exception_fp_ieee_inexact 0
		.amdhsa_exception_int_div_zero 0
	.end_amdhsa_kernel
	.section	.text._ZN9rocsparseL28coommnn_general_block_reduceILj1024EdldEEvT1_S1_PKS1_PKT0_PT2_ll16rocsparse_order_,"axG",@progbits,_ZN9rocsparseL28coommnn_general_block_reduceILj1024EdldEEvT1_S1_PKS1_PKT0_PT2_ll16rocsparse_order_,comdat
.Lfunc_end3:
	.size	_ZN9rocsparseL28coommnn_general_block_reduceILj1024EdldEEvT1_S1_PKS1_PKT0_PT2_ll16rocsparse_order_, .Lfunc_end3-_ZN9rocsparseL28coommnn_general_block_reduceILj1024EdldEEvT1_S1_PKS1_PKT0_PT2_ll16rocsparse_order_
                                        ; -- End function
	.section	.AMDGPU.csdata,"",@progbits
; Kernel info:
; codeLenInByte = 2056
; NumSgprs: 54
; NumVgprs: 35
; NumAgprs: 0
; TotalNumVgprs: 35
; ScratchSize: 0
; MemoryBound: 0
; FloatMode: 240
; IeeeMode: 1
; LDSByteSize: 16384 bytes/workgroup (compile time only)
; SGPRBlocks: 6
; VGPRBlocks: 4
; NumSGPRsForWavesPerEU: 54
; NumVGPRsForWavesPerEU: 35
; AccumOffset: 36
; Occupancy: 8
; WaveLimiterHint : 0
; COMPUTE_PGM_RSRC2:SCRATCH_EN: 0
; COMPUTE_PGM_RSRC2:USER_SGPR: 6
; COMPUTE_PGM_RSRC2:TRAP_HANDLER: 0
; COMPUTE_PGM_RSRC2:TGID_X_EN: 1
; COMPUTE_PGM_RSRC2:TGID_Y_EN: 0
; COMPUTE_PGM_RSRC2:TGID_Z_EN: 1
; COMPUTE_PGM_RSRC2:TIDIG_COMP_CNT: 0
; COMPUTE_PGM_RSRC3_GFX90A:ACCUM_OFFSET: 8
; COMPUTE_PGM_RSRC3_GFX90A:TG_SPLIT: 0
	.section	.text._ZN9rocsparseL28coommnn_general_block_reduceILj1024E21rocsparse_complex_numIfEiS2_EEvT1_S3_PKS3_PKT0_PT2_ll16rocsparse_order_,"axG",@progbits,_ZN9rocsparseL28coommnn_general_block_reduceILj1024E21rocsparse_complex_numIfEiS2_EEvT1_S3_PKS3_PKT0_PT2_ll16rocsparse_order_,comdat
	.globl	_ZN9rocsparseL28coommnn_general_block_reduceILj1024E21rocsparse_complex_numIfEiS2_EEvT1_S3_PKS3_PKT0_PT2_ll16rocsparse_order_ ; -- Begin function _ZN9rocsparseL28coommnn_general_block_reduceILj1024E21rocsparse_complex_numIfEiS2_EEvT1_S3_PKS3_PKT0_PT2_ll16rocsparse_order_
	.p2align	8
	.type	_ZN9rocsparseL28coommnn_general_block_reduceILj1024E21rocsparse_complex_numIfEiS2_EEvT1_S3_PKS3_PKT0_PT2_ll16rocsparse_order_,@function
_ZN9rocsparseL28coommnn_general_block_reduceILj1024E21rocsparse_complex_numIfEiS2_EEvT1_S3_PKS3_PKT0_PT2_ll16rocsparse_order_: ; @_ZN9rocsparseL28coommnn_general_block_reduceILj1024E21rocsparse_complex_numIfEiS2_EEvT1_S3_PKS3_PKT0_PT2_ll16rocsparse_order_
; %bb.0:
	s_load_dwordx2 s[34:35], s[4:5], 0x0
	s_waitcnt lgkmcnt(0)
	s_cmp_lt_i32 s35, 1
	s_cbranch_scc1 .LBB4_53
; %bb.1:
	s_load_dwordx8 s[24:31], s[4:5], 0x8
	s_load_dwordx2 s[38:39], s[4:5], 0x28
	s_load_dword s36, s[4:5], 0x30
	s_mul_i32 s0, s7, s34
	s_add_i32 s0, s0, s6
	s_mov_b32 s34, s7
	s_waitcnt lgkmcnt(0)
	s_mul_i32 s39, s34, s39
	s_cmp_lg_u32 s36, 1
	s_cselect_b64 s[36:37], -1, 0
	s_ashr_i32 s40, s34, 31
	s_mul_hi_u32 s41, s34, s38
	s_mul_i32 s42, s7, s35
	s_ashr_i32 s7, s6, 31
	s_add_i32 s39, s41, s39
	s_mul_i32 s40, s40, s38
	s_add_i32 s39, s39, s40
	s_lshl_b64 s[40:41], s[6:7], 3
	s_mul_i32 s38, s34, s38
	s_add_u32 s34, s28, s40
	s_addc_u32 s44, s29, s41
	s_lshl_b64 s[40:41], s[38:39], 3
	s_add_u32 s34, s34, s40
	s_addc_u32 s38, s44, s41
	s_mul_i32 s39, s6, s31
	s_mul_hi_u32 s44, s6, s30
	s_add_i32 s39, s44, s39
	s_mul_i32 s7, s7, s30
	s_add_i32 s7, s39, s7
	s_mul_i32 s6, s6, s30
	s_lshl_b64 s[6:7], s[6:7], 3
	s_add_u32 s6, s28, s6
	s_addc_u32 s7, s29, s7
	v_lshlrev_b32_e32 v2, 2, v0
	s_mul_i32 s43, s0, s35
	v_lshlrev_b32_e32 v8, 3, v0
	s_movk_i32 s14, 0x7f
	s_movk_i32 s16, 0xff
	;; [unrolled: 1-line block ×4, first 2 shown]
	s_add_u32 s39, s6, s40
	v_or_b32_e32 v1, 0x2000, v2
	s_mov_b32 s33, 0
	v_cmp_ne_u32_e64 s[0:1], 0, v0
	v_add_u32_e32 v9, 0x1ffc, v2
	v_add_u32_e32 v10, -8, v8
	v_cmp_lt_u32_e64 s[2:3], 1, v0
	v_add_u32_e32 v11, 0x1ff8, v2
	v_add_u32_e32 v12, -16, v8
	v_cmp_lt_u32_e64 s[4:5], 3, v0
	v_add_u32_e32 v13, 0x1ff0, v2
	v_subrev_u32_e32 v14, 32, v8
	v_cmp_lt_u32_e64 s[22:23], 7, v0
	v_add_u32_e32 v15, 0x1fe0, v2
	v_subrev_u32_e32 v16, 64, v8
	v_cmp_lt_u32_e64 s[8:9], 15, v0
	v_add_u32_e32 v17, 0x1fc0, v2
	v_add_u32_e32 v18, 0xffffff80, v8
	v_cmp_lt_u32_e64 s[10:11], 31, v0
	v_add_u32_e32 v19, 0x1f80, v2
	v_add_u32_e32 v20, 0xffffff00, v8
	;; [unrolled: 3-line block ×6, first 2 shown]
	v_cmp_ne_u32_e64 s[20:21], s20, v0
	s_addc_u32 s40, s7, s41
	v_add_u32_e32 v29, s43, v0
	v_add_u32_e32 v30, s42, v0
	v_mov_b32_e32 v3, 0
	s_branch .LBB4_4
.LBB4_2:                                ;   in Loop: Header=BB4_4 Depth=1
	global_load_dwordx2 v[6:7], v[4:5], off
	ds_read_b64 v[32:33], v8
	s_waitcnt vmcnt(0) lgkmcnt(0)
	v_pk_add_f32 v[6:7], v[32:33], v[6:7]
	global_store_dwordx2 v[4:5], v[6:7], off
.LBB4_3:                                ;   in Loop: Header=BB4_4 Depth=1
	s_or_b64 exec, exec, s[6:7]
	s_addk_i32 s33, 0x400
	s_cmp_ge_i32 s33, s35
	s_barrier
	s_cbranch_scc1 .LBB4_53
.LBB4_4:                                ; =>This Inner Loop Header: Depth=1
	v_add_u32_e32 v2, s33, v0
	v_cmp_gt_i32_e32 vcc, s35, v2
	v_mov_b32_e32 v2, -1
	v_mov_b32_e32 v4, 0
	v_mov_b32_e32 v5, 0
	s_and_saveexec_b64 s[6:7], vcc
	s_cbranch_execz .LBB4_6
; %bb.5:                                ;   in Loop: Header=BB4_4 Depth=1
	v_add_u32_e32 v4, s33, v30
	v_ashrrev_i32_e32 v5, 31, v4
	v_lshlrev_b64 v[4:5], 2, v[4:5]
	v_mov_b32_e32 v2, s25
	v_add_co_u32_e32 v4, vcc, s24, v4
	v_addc_co_u32_e32 v5, vcc, v2, v5, vcc
	global_load_dword v2, v[4:5], off
	v_add_u32_e32 v4, s33, v29
	v_ashrrev_i32_e32 v5, 31, v4
	v_lshlrev_b64 v[4:5], 3, v[4:5]
	v_mov_b32_e32 v6, s27
	v_add_co_u32_e32 v4, vcc, s26, v4
	v_addc_co_u32_e32 v5, vcc, v6, v5, vcc
	global_load_dwordx2 v[4:5], v[4:5], off
.LBB4_6:                                ;   in Loop: Header=BB4_4 Depth=1
	s_or_b64 exec, exec, s[6:7]
	s_waitcnt vmcnt(1)
	ds_write_b32 v1, v2
	s_waitcnt vmcnt(0)
	ds_write_b64 v8, v[4:5]
	v_mov_b32_e32 v4, 0
	v_mov_b32_e32 v6, 0
	;; [unrolled: 1-line block ×3, first 2 shown]
	s_waitcnt lgkmcnt(0)
	s_barrier
	s_and_saveexec_b64 s[6:7], s[0:1]
	s_cbranch_execz .LBB4_10
; %bb.7:                                ;   in Loop: Header=BB4_4 Depth=1
	ds_read2_b32 v[32:33], v9 offset1:1
	v_mov_b32_e32 v7, 0
	v_mov_b32_e32 v6, 0
	s_waitcnt lgkmcnt(0)
	v_cmp_eq_u32_e32 vcc, v33, v32
	s_and_saveexec_b64 s[28:29], vcc
	s_cbranch_execz .LBB4_9
; %bb.8:                                ;   in Loop: Header=BB4_4 Depth=1
	ds_read_b64 v[6:7], v10
.LBB4_9:                                ;   in Loop: Header=BB4_4 Depth=1
	s_or_b64 exec, exec, s[28:29]
.LBB4_10:                               ;   in Loop: Header=BB4_4 Depth=1
	s_or_b64 exec, exec, s[6:7]
	s_waitcnt lgkmcnt(0)
	s_barrier
	ds_read_b64 v[32:33], v8
	v_mov_b32_e32 v5, 0
	s_waitcnt lgkmcnt(0)
	v_pk_add_f32 v[6:7], v[6:7], v[32:33]
	ds_write_b64 v8, v[6:7]
	s_waitcnt lgkmcnt(0)
	s_barrier
	s_and_saveexec_b64 s[6:7], s[2:3]
	s_cbranch_execz .LBB4_14
; %bb.11:                               ;   in Loop: Header=BB4_4 Depth=1
	ds_read_b32 v2, v1
	ds_read_b32 v4, v11
	v_mov_b32_e32 v5, 0
	s_waitcnt lgkmcnt(0)
	v_cmp_eq_u32_e32 vcc, v2, v4
	v_mov_b32_e32 v4, 0
	s_and_saveexec_b64 s[28:29], vcc
	s_cbranch_execz .LBB4_13
; %bb.12:                               ;   in Loop: Header=BB4_4 Depth=1
	ds_read_b64 v[4:5], v12
.LBB4_13:                               ;   in Loop: Header=BB4_4 Depth=1
	s_or_b64 exec, exec, s[28:29]
.LBB4_14:                               ;   in Loop: Header=BB4_4 Depth=1
	s_or_b64 exec, exec, s[6:7]
	s_waitcnt lgkmcnt(0)
	s_barrier
	ds_read_b64 v[6:7], v8
	s_waitcnt lgkmcnt(0)
	v_pk_add_f32 v[4:5], v[4:5], v[6:7]
	ds_write_b64 v8, v[4:5]
	v_mov_b32_e32 v4, 0
	v_mov_b32_e32 v6, 0
	v_mov_b32_e32 v7, 0
	s_waitcnt lgkmcnt(0)
	s_barrier
	s_and_saveexec_b64 s[6:7], s[4:5]
	s_cbranch_execz .LBB4_18
; %bb.15:                               ;   in Loop: Header=BB4_4 Depth=1
	ds_read_b32 v2, v1
	ds_read_b32 v5, v13
	v_mov_b32_e32 v7, 0
	v_mov_b32_e32 v6, 0
	s_waitcnt lgkmcnt(0)
	v_cmp_eq_u32_e32 vcc, v2, v5
	s_and_saveexec_b64 s[28:29], vcc
	s_cbranch_execz .LBB4_17
; %bb.16:                               ;   in Loop: Header=BB4_4 Depth=1
	ds_read_b64 v[6:7], v14
.LBB4_17:                               ;   in Loop: Header=BB4_4 Depth=1
	s_or_b64 exec, exec, s[28:29]
.LBB4_18:                               ;   in Loop: Header=BB4_4 Depth=1
	s_or_b64 exec, exec, s[6:7]
	s_waitcnt lgkmcnt(0)
	s_barrier
	ds_read_b64 v[32:33], v8
	v_mov_b32_e32 v5, 0
	s_waitcnt lgkmcnt(0)
	v_pk_add_f32 v[6:7], v[6:7], v[32:33]
	ds_write_b64 v8, v[6:7]
	s_waitcnt lgkmcnt(0)
	s_barrier
	s_and_saveexec_b64 s[6:7], s[22:23]
	s_cbranch_execz .LBB4_22
; %bb.19:                               ;   in Loop: Header=BB4_4 Depth=1
	ds_read_b32 v2, v1
	ds_read_b32 v4, v15
	v_mov_b32_e32 v5, 0
	s_waitcnt lgkmcnt(0)
	v_cmp_eq_u32_e32 vcc, v2, v4
	v_mov_b32_e32 v4, 0
	s_and_saveexec_b64 s[28:29], vcc
	s_cbranch_execz .LBB4_21
; %bb.20:                               ;   in Loop: Header=BB4_4 Depth=1
	ds_read_b64 v[4:5], v16
.LBB4_21:                               ;   in Loop: Header=BB4_4 Depth=1
	s_or_b64 exec, exec, s[28:29]
.LBB4_22:                               ;   in Loop: Header=BB4_4 Depth=1
	s_or_b64 exec, exec, s[6:7]
	s_waitcnt lgkmcnt(0)
	s_barrier
	ds_read_b64 v[6:7], v8
	s_waitcnt lgkmcnt(0)
	v_pk_add_f32 v[4:5], v[4:5], v[6:7]
	ds_write_b64 v8, v[4:5]
	v_mov_b32_e32 v4, 0
	v_mov_b32_e32 v6, 0
	v_mov_b32_e32 v7, 0
	s_waitcnt lgkmcnt(0)
	s_barrier
	s_and_saveexec_b64 s[6:7], s[8:9]
	s_cbranch_execz .LBB4_26
; %bb.23:                               ;   in Loop: Header=BB4_4 Depth=1
	ds_read_b32 v2, v1
	ds_read_b32 v5, v17
	v_mov_b32_e32 v7, 0
	v_mov_b32_e32 v6, 0
	s_waitcnt lgkmcnt(0)
	v_cmp_eq_u32_e32 vcc, v2, v5
	s_and_saveexec_b64 s[28:29], vcc
	s_cbranch_execz .LBB4_25
; %bb.24:                               ;   in Loop: Header=BB4_4 Depth=1
	ds_read_b64 v[6:7], v18
.LBB4_25:                               ;   in Loop: Header=BB4_4 Depth=1
	s_or_b64 exec, exec, s[28:29]
.LBB4_26:                               ;   in Loop: Header=BB4_4 Depth=1
	;; [unrolled: 54-line block ×4, first 2 shown]
	s_or_b64 exec, exec, s[6:7]
	s_waitcnt lgkmcnt(0)
	s_barrier
	ds_read_b64 v[32:33], v8
	v_mov_b32_e32 v5, 0
	s_waitcnt lgkmcnt(0)
	v_pk_add_f32 v[6:7], v[6:7], v[32:33]
	ds_write_b64 v8, v[6:7]
	s_waitcnt lgkmcnt(0)
	s_barrier
	s_and_saveexec_b64 s[6:7], s[18:19]
	s_cbranch_execz .LBB4_46
; %bb.43:                               ;   in Loop: Header=BB4_4 Depth=1
	ds_read_b32 v2, v1
	ds_read_b32 v4, v27
	v_mov_b32_e32 v5, 0
	s_waitcnt lgkmcnt(0)
	v_cmp_eq_u32_e32 vcc, v2, v4
	v_mov_b32_e32 v4, 0
	s_and_saveexec_b64 s[28:29], vcc
	s_cbranch_execz .LBB4_45
; %bb.44:                               ;   in Loop: Header=BB4_4 Depth=1
	ds_read_b64 v[4:5], v28
.LBB4_45:                               ;   in Loop: Header=BB4_4 Depth=1
	s_or_b64 exec, exec, s[28:29]
.LBB4_46:                               ;   in Loop: Header=BB4_4 Depth=1
	s_or_b64 exec, exec, s[6:7]
	s_waitcnt lgkmcnt(0)
	s_barrier
	ds_read_b64 v[6:7], v8
	s_waitcnt lgkmcnt(0)
	v_pk_add_f32 v[4:5], v[4:5], v[6:7]
	ds_write_b64 v8, v[4:5]
	s_waitcnt lgkmcnt(0)
	s_barrier
	ds_read_b32 v2, v1
	v_mov_b32_e32 v4, -1
	s_and_saveexec_b64 s[6:7], s[20:21]
	s_cbranch_execz .LBB4_48
; %bb.47:                               ;   in Loop: Header=BB4_4 Depth=1
	ds_read_b32 v4, v1 offset:4
.LBB4_48:                               ;   in Loop: Header=BB4_4 Depth=1
	s_or_b64 exec, exec, s[6:7]
	s_waitcnt lgkmcnt(0)
	v_cmp_ne_u32_e32 vcc, v2, v4
	v_cmp_lt_i32_e64 s[6:7], -1, v2
	s_and_b64 s[28:29], s[6:7], vcc
	s_and_saveexec_b64 s[6:7], s[28:29]
	s_cbranch_execz .LBB4_3
; %bb.49:                               ;   in Loop: Header=BB4_4 Depth=1
	s_and_b64 vcc, exec, s[36:37]
	s_cbranch_vccz .LBB4_51
; %bb.50:                               ;   in Loop: Header=BB4_4 Depth=1
	v_mad_u64_u32 v[4:5], s[28:29], v2, s30, 0
	v_mov_b32_e32 v6, v5
	v_mad_u64_u32 v[6:7], s[28:29], v2, s31, v[6:7]
	v_mov_b32_e32 v5, v6
	v_lshlrev_b64 v[4:5], 3, v[4:5]
	v_mov_b32_e32 v6, s38
	v_add_co_u32_e32 v4, vcc, s34, v4
	v_addc_co_u32_e32 v5, vcc, v6, v5, vcc
	s_cbranch_execnz .LBB4_2
	s_branch .LBB4_52
.LBB4_51:                               ;   in Loop: Header=BB4_4 Depth=1
                                        ; implicit-def: $vgpr4_vgpr5
.LBB4_52:                               ;   in Loop: Header=BB4_4 Depth=1
	v_lshlrev_b64 v[4:5], 3, v[2:3]
	v_mov_b32_e32 v2, s40
	v_add_co_u32_e32 v4, vcc, s39, v4
	v_addc_co_u32_e32 v5, vcc, v2, v5, vcc
	s_branch .LBB4_2
.LBB4_53:
	s_endpgm
	.section	.rodata,"a",@progbits
	.p2align	6, 0x0
	.amdhsa_kernel _ZN9rocsparseL28coommnn_general_block_reduceILj1024E21rocsparse_complex_numIfEiS2_EEvT1_S3_PKS3_PKT0_PT2_ll16rocsparse_order_
		.amdhsa_group_segment_fixed_size 12288
		.amdhsa_private_segment_fixed_size 0
		.amdhsa_kernarg_size 52
		.amdhsa_user_sgpr_count 6
		.amdhsa_user_sgpr_private_segment_buffer 1
		.amdhsa_user_sgpr_dispatch_ptr 0
		.amdhsa_user_sgpr_queue_ptr 0
		.amdhsa_user_sgpr_kernarg_segment_ptr 1
		.amdhsa_user_sgpr_dispatch_id 0
		.amdhsa_user_sgpr_flat_scratch_init 0
		.amdhsa_user_sgpr_kernarg_preload_length 0
		.amdhsa_user_sgpr_kernarg_preload_offset 0
		.amdhsa_user_sgpr_private_segment_size 0
		.amdhsa_uses_dynamic_stack 0
		.amdhsa_system_sgpr_private_segment_wavefront_offset 0
		.amdhsa_system_sgpr_workgroup_id_x 1
		.amdhsa_system_sgpr_workgroup_id_y 0
		.amdhsa_system_sgpr_workgroup_id_z 1
		.amdhsa_system_sgpr_workgroup_info 0
		.amdhsa_system_vgpr_workitem_id 0
		.amdhsa_next_free_vgpr 34
		.amdhsa_next_free_sgpr 45
		.amdhsa_accum_offset 36
		.amdhsa_reserve_vcc 1
		.amdhsa_reserve_flat_scratch 0
		.amdhsa_float_round_mode_32 0
		.amdhsa_float_round_mode_16_64 0
		.amdhsa_float_denorm_mode_32 3
		.amdhsa_float_denorm_mode_16_64 3
		.amdhsa_dx10_clamp 1
		.amdhsa_ieee_mode 1
		.amdhsa_fp16_overflow 0
		.amdhsa_tg_split 0
		.amdhsa_exception_fp_ieee_invalid_op 0
		.amdhsa_exception_fp_denorm_src 0
		.amdhsa_exception_fp_ieee_div_zero 0
		.amdhsa_exception_fp_ieee_overflow 0
		.amdhsa_exception_fp_ieee_underflow 0
		.amdhsa_exception_fp_ieee_inexact 0
		.amdhsa_exception_int_div_zero 0
	.end_amdhsa_kernel
	.section	.text._ZN9rocsparseL28coommnn_general_block_reduceILj1024E21rocsparse_complex_numIfEiS2_EEvT1_S3_PKS3_PKT0_PT2_ll16rocsparse_order_,"axG",@progbits,_ZN9rocsparseL28coommnn_general_block_reduceILj1024E21rocsparse_complex_numIfEiS2_EEvT1_S3_PKS3_PKT0_PT2_ll16rocsparse_order_,comdat
.Lfunc_end4:
	.size	_ZN9rocsparseL28coommnn_general_block_reduceILj1024E21rocsparse_complex_numIfEiS2_EEvT1_S3_PKS3_PKT0_PT2_ll16rocsparse_order_, .Lfunc_end4-_ZN9rocsparseL28coommnn_general_block_reduceILj1024E21rocsparse_complex_numIfEiS2_EEvT1_S3_PKS3_PKT0_PT2_ll16rocsparse_order_
                                        ; -- End function
	.section	.AMDGPU.csdata,"",@progbits
; Kernel info:
; codeLenInByte = 1952
; NumSgprs: 49
; NumVgprs: 34
; NumAgprs: 0
; TotalNumVgprs: 34
; ScratchSize: 0
; MemoryBound: 0
; FloatMode: 240
; IeeeMode: 1
; LDSByteSize: 12288 bytes/workgroup (compile time only)
; SGPRBlocks: 6
; VGPRBlocks: 4
; NumSGPRsForWavesPerEU: 49
; NumVGPRsForWavesPerEU: 34
; AccumOffset: 36
; Occupancy: 8
; WaveLimiterHint : 0
; COMPUTE_PGM_RSRC2:SCRATCH_EN: 0
; COMPUTE_PGM_RSRC2:USER_SGPR: 6
; COMPUTE_PGM_RSRC2:TRAP_HANDLER: 0
; COMPUTE_PGM_RSRC2:TGID_X_EN: 1
; COMPUTE_PGM_RSRC2:TGID_Y_EN: 0
; COMPUTE_PGM_RSRC2:TGID_Z_EN: 1
; COMPUTE_PGM_RSRC2:TIDIG_COMP_CNT: 0
; COMPUTE_PGM_RSRC3_GFX90A:ACCUM_OFFSET: 8
; COMPUTE_PGM_RSRC3_GFX90A:TG_SPLIT: 0
	.section	.text._ZN9rocsparseL28coommnn_general_block_reduceILj1024E21rocsparse_complex_numIfElS2_EEvT1_S3_PKS3_PKT0_PT2_ll16rocsparse_order_,"axG",@progbits,_ZN9rocsparseL28coommnn_general_block_reduceILj1024E21rocsparse_complex_numIfElS2_EEvT1_S3_PKS3_PKT0_PT2_ll16rocsparse_order_,comdat
	.globl	_ZN9rocsparseL28coommnn_general_block_reduceILj1024E21rocsparse_complex_numIfElS2_EEvT1_S3_PKS3_PKT0_PT2_ll16rocsparse_order_ ; -- Begin function _ZN9rocsparseL28coommnn_general_block_reduceILj1024E21rocsparse_complex_numIfElS2_EEvT1_S3_PKS3_PKT0_PT2_ll16rocsparse_order_
	.p2align	8
	.type	_ZN9rocsparseL28coommnn_general_block_reduceILj1024E21rocsparse_complex_numIfElS2_EEvT1_S3_PKS3_PKT0_PT2_ll16rocsparse_order_,@function
_ZN9rocsparseL28coommnn_general_block_reduceILj1024E21rocsparse_complex_numIfElS2_EEvT1_S3_PKS3_PKT0_PT2_ll16rocsparse_order_: ; @_ZN9rocsparseL28coommnn_general_block_reduceILj1024E21rocsparse_complex_numIfElS2_EEvT1_S3_PKS3_PKT0_PT2_ll16rocsparse_order_
; %bb.0:
	s_load_dwordx4 s[28:31], s[4:5], 0x0
	s_waitcnt lgkmcnt(0)
	v_cmp_lt_i64_e64 s[0:1], s[30:31], 1
	s_and_b64 vcc, exec, s[0:1]
	s_cbranch_vccnz .LBB5_53
; %bb.1:
	s_load_dwordx8 s[36:43], s[4:5], 0x10
	s_load_dwordx2 s[34:35], s[4:5], 0x30
	s_load_dword s25, s[4:5], 0x38
	s_mov_b32 s24, s7
	s_mov_b32 s7, 0
	s_lshl_b64 s[44:45], s[6:7], 3
	s_waitcnt lgkmcnt(0)
	s_add_u32 s7, s40, s44
	s_addc_u32 s48, s41, s45
	s_ashr_i32 s49, s24, 31
	s_cmp_lg_u32 s25, 1
	s_mul_i32 s25, s24, s35
	s_mul_hi_u32 s33, s24, s34
	s_cselect_b64 s[26:27], -1, 0
	s_add_i32 s25, s33, s25
	s_mul_i32 s33, s49, s34
	s_add_i32 s35, s25, s33
	s_mul_i32 s34, s24, s34
	s_lshl_b64 s[46:47], s[34:35], 3
	s_add_u32 s33, s7, s46
	s_mul_i32 s7, s6, s43
	s_mul_hi_u32 s25, s6, s42
	s_addc_u32 s34, s48, s47
	s_add_i32 s7, s25, s7
	s_mul_i32 s6, s6, s42
	s_lshl_b64 s[6:7], s[6:7], 3
	s_add_u32 s6, s40, s6
	s_addc_u32 s7, s41, s7
	s_add_u32 s35, s6, s46
	s_addc_u32 s40, s7, s47
	s_mul_hi_u32 s6, s28, s24
	s_mul_i32 s7, s28, s49
	s_add_i32 s6, s6, s7
	s_mul_i32 s7, s29, s24
	s_add_i32 s7, s6, s7
	s_mul_i32 s6, s28, s24
	s_lshl_b64 s[6:7], s[6:7], 3
	s_add_u32 s6, s6, s44
	s_addc_u32 s7, s7, s45
	s_mul_i32 s7, s30, s7
	s_mul_hi_u32 s25, s30, s6
	s_add_i32 s7, s25, s7
	s_mul_i32 s25, s31, s6
	s_add_i32 s7, s7, s25
	s_mul_i32 s6, s30, s6
	s_add_u32 s6, s38, s6
	v_lshlrev_b32_e32 v1, 3, v0
	s_addc_u32 s7, s39, s7
	v_mov_b32_e32 v3, s7
	v_add_co_u32_e32 v2, vcc, s6, v1
	s_mul_hi_u32 s6, s30, s24
	s_mul_i32 s7, s30, s49
	s_add_i32 s6, s6, s7
	s_mul_i32 s7, s31, s24
	s_add_i32 s7, s6, s7
	s_mul_i32 s6, s30, s24
	s_lshl_b64 s[6:7], s[6:7], 3
	s_add_u32 s6, s36, s6
	v_addc_co_u32_e32 v3, vcc, 0, v3, vcc
	s_addc_u32 s7, s37, s7
	s_movk_i32 s14, 0x7f
	s_movk_i32 s16, 0xff
	;; [unrolled: 1-line block ×4, first 2 shown]
	v_mov_b32_e32 v5, s7
	v_add_co_u32_e32 v4, vcc, s6, v1
	v_or_b32_e32 v10, 0x2000, v1
	v_cmp_ne_u32_e64 s[0:1], 0, v0
	v_add_u32_e32 v11, -8, v1
	v_add_u32_e32 v12, 0x1ff8, v1
	v_cmp_lt_u32_e64 s[2:3], 1, v0
	v_add_u32_e32 v13, -16, v1
	v_add_u32_e32 v14, 0x1ff0, v1
	v_cmp_lt_u32_e64 s[4:5], 3, v0
	v_subrev_u32_e32 v15, 32, v1
	v_add_u32_e32 v16, 0x1fe0, v1
	v_cmp_lt_u32_e64 s[22:23], 7, v0
	v_subrev_u32_e32 v17, 64, v1
	v_add_u32_e32 v18, 0x1fc0, v1
	v_cmp_lt_u32_e64 s[8:9], 15, v0
	v_add_u32_e32 v19, 0xffffff80, v1
	v_add_u32_e32 v20, 0x1f80, v1
	v_cmp_lt_u32_e64 s[10:11], 31, v0
	v_add_u32_e32 v21, 0xffffff00, v1
	v_add_u32_e32 v22, 0x1f00, v1
	v_cmp_lt_u32_e64 s[12:13], 63, v0
	v_add_u32_e32 v23, 0xfffffe00, v1
	v_add_u32_e32 v24, 0x1e00, v1
	v_cmp_lt_u32_e64 s[14:15], s14, v0
	v_add_u32_e32 v25, 0xfffffc00, v1
	v_add_u32_e32 v26, 0x1c00, v1
	v_cmp_lt_u32_e64 s[16:17], s16, v0
	v_add_u32_e32 v27, 0xfffff800, v1
	v_add_u32_e32 v28, 0x1800, v1
	v_cmp_lt_u32_e64 s[18:19], s18, v0
	v_add_u32_e32 v29, 0xfffff000, v1
	v_add_u32_e32 v30, 0x1000, v1
	v_cmp_ne_u32_e64 s[20:21], s20, v0
	v_addc_co_u32_e32 v5, vcc, 0, v5, vcc
	s_mov_b64 s[24:25], 0
	s_branch .LBB5_4
.LBB5_2:                                ;   in Loop: Header=BB5_4 Depth=1
	global_load_dwordx2 v[6:7], v[8:9], off
	ds_read_b64 v[32:33], v10
	s_waitcnt vmcnt(0) lgkmcnt(0)
	v_pk_add_f32 v[6:7], v[32:33], v[6:7]
	global_store_dwordx2 v[8:9], v[6:7], off
.LBB5_3:                                ;   in Loop: Header=BB5_4 Depth=1
	s_or_b64 exec, exec, s[6:7]
	v_add_co_u32_e32 v2, vcc, 0x2000, v2
	v_addc_co_u32_e32 v3, vcc, 0, v3, vcc
	s_add_u32 s24, s24, 0x400
	v_add_co_u32_e32 v4, vcc, 0x2000, v4
	s_addc_u32 s25, s25, 0
	v_addc_co_u32_e32 v5, vcc, 0, v5, vcc
	v_pk_mov_b32 v[6:7], s[30:31], s[30:31] op_sel:[0,1]
	v_cmp_ge_i64_e32 vcc, s[24:25], v[6:7]
	s_barrier
	s_cbranch_vccnz .LBB5_53
.LBB5_4:                                ; =>This Inner Loop Header: Depth=1
	v_mov_b32_e32 v7, s25
	v_add_co_u32_e32 v6, vcc, s24, v0
	v_addc_co_u32_e32 v7, vcc, 0, v7, vcc
	v_cmp_gt_i64_e32 vcc, s[30:31], v[6:7]
	v_pk_mov_b32 v[8:9], -1, -1
	v_mov_b32_e32 v6, 0
	v_mov_b32_e32 v7, 0
	s_and_saveexec_b64 s[6:7], vcc
	s_cbranch_execz .LBB5_6
; %bb.5:                                ;   in Loop: Header=BB5_4 Depth=1
	global_load_dwordx2 v[8:9], v[4:5], off
	global_load_dwordx2 v[6:7], v[2:3], off
.LBB5_6:                                ;   in Loop: Header=BB5_4 Depth=1
	s_or_b64 exec, exec, s[6:7]
	s_waitcnt vmcnt(1)
	ds_write_b64 v1, v[8:9]
	s_waitcnt vmcnt(0)
	ds_write_b64 v10, v[6:7]
	v_mov_b32_e32 v6, 0
	v_mov_b32_e32 v8, 0
	;; [unrolled: 1-line block ×3, first 2 shown]
	s_waitcnt lgkmcnt(0)
	s_barrier
	s_and_saveexec_b64 s[6:7], s[0:1]
	s_cbranch_execz .LBB5_10
; %bb.7:                                ;   in Loop: Header=BB5_4 Depth=1
	ds_read2_b64 v[32:35], v11 offset1:1
	v_mov_b32_e32 v9, 0
	v_mov_b32_e32 v8, 0
	s_waitcnt lgkmcnt(0)
	v_cmp_eq_u64_e32 vcc, v[34:35], v[32:33]
	s_and_saveexec_b64 s[28:29], vcc
	s_cbranch_execz .LBB5_9
; %bb.8:                                ;   in Loop: Header=BB5_4 Depth=1
	ds_read_b64 v[8:9], v12
.LBB5_9:                                ;   in Loop: Header=BB5_4 Depth=1
	s_or_b64 exec, exec, s[28:29]
.LBB5_10:                               ;   in Loop: Header=BB5_4 Depth=1
	s_or_b64 exec, exec, s[6:7]
	s_waitcnt lgkmcnt(0)
	s_barrier
	ds_read_b64 v[32:33], v10
	v_mov_b32_e32 v7, 0
	s_waitcnt lgkmcnt(0)
	v_pk_add_f32 v[8:9], v[8:9], v[32:33]
	ds_write_b64 v10, v[8:9]
	s_waitcnt lgkmcnt(0)
	s_barrier
	s_and_saveexec_b64 s[6:7], s[2:3]
	s_cbranch_execz .LBB5_14
; %bb.11:                               ;   in Loop: Header=BB5_4 Depth=1
	ds_read_b64 v[8:9], v1
	ds_read_b64 v[32:33], v13
	v_mov_b32_e32 v7, 0
	v_mov_b32_e32 v6, 0
	s_waitcnt lgkmcnt(0)
	v_cmp_eq_u64_e32 vcc, v[8:9], v[32:33]
	s_and_saveexec_b64 s[28:29], vcc
	s_cbranch_execz .LBB5_13
; %bb.12:                               ;   in Loop: Header=BB5_4 Depth=1
	ds_read_b64 v[6:7], v14
.LBB5_13:                               ;   in Loop: Header=BB5_4 Depth=1
	s_or_b64 exec, exec, s[28:29]
.LBB5_14:                               ;   in Loop: Header=BB5_4 Depth=1
	s_or_b64 exec, exec, s[6:7]
	s_waitcnt lgkmcnt(0)
	s_barrier
	ds_read_b64 v[8:9], v10
	s_waitcnt lgkmcnt(0)
	v_pk_add_f32 v[6:7], v[6:7], v[8:9]
	ds_write_b64 v10, v[6:7]
	v_mov_b32_e32 v6, 0
	v_mov_b32_e32 v8, 0
	v_mov_b32_e32 v9, 0
	s_waitcnt lgkmcnt(0)
	s_barrier
	s_and_saveexec_b64 s[6:7], s[4:5]
	s_cbranch_execz .LBB5_18
; %bb.15:                               ;   in Loop: Header=BB5_4 Depth=1
	ds_read_b64 v[32:33], v1
	ds_read_b64 v[34:35], v15
	v_mov_b32_e32 v9, 0
	v_mov_b32_e32 v8, 0
	s_waitcnt lgkmcnt(0)
	v_cmp_eq_u64_e32 vcc, v[32:33], v[34:35]
	s_and_saveexec_b64 s[28:29], vcc
	s_cbranch_execz .LBB5_17
; %bb.16:                               ;   in Loop: Header=BB5_4 Depth=1
	ds_read_b64 v[8:9], v16
.LBB5_17:                               ;   in Loop: Header=BB5_4 Depth=1
	s_or_b64 exec, exec, s[28:29]
.LBB5_18:                               ;   in Loop: Header=BB5_4 Depth=1
	s_or_b64 exec, exec, s[6:7]
	s_waitcnt lgkmcnt(0)
	s_barrier
	ds_read_b64 v[32:33], v10
	v_mov_b32_e32 v7, 0
	s_waitcnt lgkmcnt(0)
	v_pk_add_f32 v[8:9], v[8:9], v[32:33]
	ds_write_b64 v10, v[8:9]
	s_waitcnt lgkmcnt(0)
	s_barrier
	s_and_saveexec_b64 s[6:7], s[22:23]
	s_cbranch_execz .LBB5_22
; %bb.19:                               ;   in Loop: Header=BB5_4 Depth=1
	ds_read_b64 v[8:9], v1
	ds_read_b64 v[32:33], v17
	v_mov_b32_e32 v7, 0
	v_mov_b32_e32 v6, 0
	s_waitcnt lgkmcnt(0)
	v_cmp_eq_u64_e32 vcc, v[8:9], v[32:33]
	s_and_saveexec_b64 s[28:29], vcc
	s_cbranch_execz .LBB5_21
; %bb.20:                               ;   in Loop: Header=BB5_4 Depth=1
	ds_read_b64 v[6:7], v18
.LBB5_21:                               ;   in Loop: Header=BB5_4 Depth=1
	s_or_b64 exec, exec, s[28:29]
.LBB5_22:                               ;   in Loop: Header=BB5_4 Depth=1
	s_or_b64 exec, exec, s[6:7]
	s_waitcnt lgkmcnt(0)
	s_barrier
	ds_read_b64 v[8:9], v10
	s_waitcnt lgkmcnt(0)
	v_pk_add_f32 v[6:7], v[6:7], v[8:9]
	ds_write_b64 v10, v[6:7]
	v_mov_b32_e32 v6, 0
	v_mov_b32_e32 v8, 0
	v_mov_b32_e32 v9, 0
	s_waitcnt lgkmcnt(0)
	s_barrier
	s_and_saveexec_b64 s[6:7], s[8:9]
	s_cbranch_execz .LBB5_26
; %bb.23:                               ;   in Loop: Header=BB5_4 Depth=1
	ds_read_b64 v[32:33], v1
	ds_read_b64 v[34:35], v19
	v_mov_b32_e32 v9, 0
	v_mov_b32_e32 v8, 0
	s_waitcnt lgkmcnt(0)
	v_cmp_eq_u64_e32 vcc, v[32:33], v[34:35]
	s_and_saveexec_b64 s[28:29], vcc
	s_cbranch_execz .LBB5_25
; %bb.24:                               ;   in Loop: Header=BB5_4 Depth=1
	ds_read_b64 v[8:9], v20
.LBB5_25:                               ;   in Loop: Header=BB5_4 Depth=1
	s_or_b64 exec, exec, s[28:29]
.LBB5_26:                               ;   in Loop: Header=BB5_4 Depth=1
	;; [unrolled: 54-line block ×4, first 2 shown]
	s_or_b64 exec, exec, s[6:7]
	s_waitcnt lgkmcnt(0)
	s_barrier
	ds_read_b64 v[32:33], v10
	v_mov_b32_e32 v7, 0
	s_waitcnt lgkmcnt(0)
	v_pk_add_f32 v[8:9], v[8:9], v[32:33]
	ds_write_b64 v10, v[8:9]
	s_waitcnt lgkmcnt(0)
	s_barrier
	s_and_saveexec_b64 s[6:7], s[18:19]
	s_cbranch_execz .LBB5_46
; %bb.43:                               ;   in Loop: Header=BB5_4 Depth=1
	ds_read_b64 v[8:9], v1
	ds_read_b64 v[32:33], v29
	v_mov_b32_e32 v7, 0
	v_mov_b32_e32 v6, 0
	s_waitcnt lgkmcnt(0)
	v_cmp_eq_u64_e32 vcc, v[8:9], v[32:33]
	s_and_saveexec_b64 s[28:29], vcc
	s_cbranch_execz .LBB5_45
; %bb.44:                               ;   in Loop: Header=BB5_4 Depth=1
	ds_read_b64 v[6:7], v30
.LBB5_45:                               ;   in Loop: Header=BB5_4 Depth=1
	s_or_b64 exec, exec, s[28:29]
.LBB5_46:                               ;   in Loop: Header=BB5_4 Depth=1
	s_or_b64 exec, exec, s[6:7]
	s_waitcnt lgkmcnt(0)
	s_barrier
	ds_read_b64 v[8:9], v10
	s_waitcnt lgkmcnt(0)
	v_pk_add_f32 v[6:7], v[6:7], v[8:9]
	ds_write_b64 v10, v[6:7]
	s_waitcnt lgkmcnt(0)
	s_barrier
	ds_read_b64 v[6:7], v1
	v_pk_mov_b32 v[8:9], -1, -1
	s_and_saveexec_b64 s[6:7], s[20:21]
	s_cbranch_execz .LBB5_48
; %bb.47:                               ;   in Loop: Header=BB5_4 Depth=1
	ds_read_b64 v[8:9], v1 offset:8
.LBB5_48:                               ;   in Loop: Header=BB5_4 Depth=1
	s_or_b64 exec, exec, s[6:7]
	s_waitcnt lgkmcnt(0)
	v_cmp_ne_u64_e32 vcc, v[6:7], v[8:9]
	v_cmp_lt_i64_e64 s[6:7], -1, v[6:7]
	s_and_b64 s[28:29], s[6:7], vcc
	s_and_saveexec_b64 s[6:7], s[28:29]
	s_cbranch_execz .LBB5_3
; %bb.49:                               ;   in Loop: Header=BB5_4 Depth=1
	s_and_b64 vcc, exec, s[26:27]
	s_cbranch_vccz .LBB5_51
; %bb.50:                               ;   in Loop: Header=BB5_4 Depth=1
	v_mul_lo_u32 v31, v7, s42
	v_mul_lo_u32 v32, v6, s43
	v_mad_u64_u32 v[8:9], s[28:29], v6, s42, 0
	v_add3_u32 v9, v9, v32, v31
	v_lshlrev_b64 v[8:9], 3, v[8:9]
	v_mov_b32_e32 v31, s34
	v_add_co_u32_e32 v8, vcc, s33, v8
	v_addc_co_u32_e32 v9, vcc, v31, v9, vcc
	s_cbranch_execnz .LBB5_2
	s_branch .LBB5_52
.LBB5_51:                               ;   in Loop: Header=BB5_4 Depth=1
                                        ; implicit-def: $vgpr8_vgpr9
.LBB5_52:                               ;   in Loop: Header=BB5_4 Depth=1
	v_lshlrev_b64 v[6:7], 3, v[6:7]
	v_mov_b32_e32 v9, s40
	v_add_co_u32_e32 v8, vcc, s35, v6
	v_addc_co_u32_e32 v9, vcc, v9, v7, vcc
	s_branch .LBB5_2
.LBB5_53:
	s_endpgm
	.section	.rodata,"a",@progbits
	.p2align	6, 0x0
	.amdhsa_kernel _ZN9rocsparseL28coommnn_general_block_reduceILj1024E21rocsparse_complex_numIfElS2_EEvT1_S3_PKS3_PKT0_PT2_ll16rocsparse_order_
		.amdhsa_group_segment_fixed_size 16384
		.amdhsa_private_segment_fixed_size 0
		.amdhsa_kernarg_size 60
		.amdhsa_user_sgpr_count 6
		.amdhsa_user_sgpr_private_segment_buffer 1
		.amdhsa_user_sgpr_dispatch_ptr 0
		.amdhsa_user_sgpr_queue_ptr 0
		.amdhsa_user_sgpr_kernarg_segment_ptr 1
		.amdhsa_user_sgpr_dispatch_id 0
		.amdhsa_user_sgpr_flat_scratch_init 0
		.amdhsa_user_sgpr_kernarg_preload_length 0
		.amdhsa_user_sgpr_kernarg_preload_offset 0
		.amdhsa_user_sgpr_private_segment_size 0
		.amdhsa_uses_dynamic_stack 0
		.amdhsa_system_sgpr_private_segment_wavefront_offset 0
		.amdhsa_system_sgpr_workgroup_id_x 1
		.amdhsa_system_sgpr_workgroup_id_y 0
		.amdhsa_system_sgpr_workgroup_id_z 1
		.amdhsa_system_sgpr_workgroup_info 0
		.amdhsa_system_vgpr_workitem_id 0
		.amdhsa_next_free_vgpr 36
		.amdhsa_next_free_sgpr 50
		.amdhsa_accum_offset 36
		.amdhsa_reserve_vcc 1
		.amdhsa_reserve_flat_scratch 0
		.amdhsa_float_round_mode_32 0
		.amdhsa_float_round_mode_16_64 0
		.amdhsa_float_denorm_mode_32 3
		.amdhsa_float_denorm_mode_16_64 3
		.amdhsa_dx10_clamp 1
		.amdhsa_ieee_mode 1
		.amdhsa_fp16_overflow 0
		.amdhsa_tg_split 0
		.amdhsa_exception_fp_ieee_invalid_op 0
		.amdhsa_exception_fp_denorm_src 0
		.amdhsa_exception_fp_ieee_div_zero 0
		.amdhsa_exception_fp_ieee_overflow 0
		.amdhsa_exception_fp_ieee_underflow 0
		.amdhsa_exception_fp_ieee_inexact 0
		.amdhsa_exception_int_div_zero 0
	.end_amdhsa_kernel
	.section	.text._ZN9rocsparseL28coommnn_general_block_reduceILj1024E21rocsparse_complex_numIfElS2_EEvT1_S3_PKS3_PKT0_PT2_ll16rocsparse_order_,"axG",@progbits,_ZN9rocsparseL28coommnn_general_block_reduceILj1024E21rocsparse_complex_numIfElS2_EEvT1_S3_PKS3_PKT0_PT2_ll16rocsparse_order_,comdat
.Lfunc_end5:
	.size	_ZN9rocsparseL28coommnn_general_block_reduceILj1024E21rocsparse_complex_numIfElS2_EEvT1_S3_PKS3_PKT0_PT2_ll16rocsparse_order_, .Lfunc_end5-_ZN9rocsparseL28coommnn_general_block_reduceILj1024E21rocsparse_complex_numIfElS2_EEvT1_S3_PKS3_PKT0_PT2_ll16rocsparse_order_
                                        ; -- End function
	.section	.AMDGPU.csdata,"",@progbits
; Kernel info:
; codeLenInByte = 2056
; NumSgprs: 54
; NumVgprs: 36
; NumAgprs: 0
; TotalNumVgprs: 36
; ScratchSize: 0
; MemoryBound: 0
; FloatMode: 240
; IeeeMode: 1
; LDSByteSize: 16384 bytes/workgroup (compile time only)
; SGPRBlocks: 6
; VGPRBlocks: 4
; NumSGPRsForWavesPerEU: 54
; NumVGPRsForWavesPerEU: 36
; AccumOffset: 36
; Occupancy: 8
; WaveLimiterHint : 0
; COMPUTE_PGM_RSRC2:SCRATCH_EN: 0
; COMPUTE_PGM_RSRC2:USER_SGPR: 6
; COMPUTE_PGM_RSRC2:TRAP_HANDLER: 0
; COMPUTE_PGM_RSRC2:TGID_X_EN: 1
; COMPUTE_PGM_RSRC2:TGID_Y_EN: 0
; COMPUTE_PGM_RSRC2:TGID_Z_EN: 1
; COMPUTE_PGM_RSRC2:TIDIG_COMP_CNT: 0
; COMPUTE_PGM_RSRC3_GFX90A:ACCUM_OFFSET: 8
; COMPUTE_PGM_RSRC3_GFX90A:TG_SPLIT: 0
	.section	.text._ZN9rocsparseL28coommnn_general_block_reduceILj1024E21rocsparse_complex_numIdEiS2_EEvT1_S3_PKS3_PKT0_PT2_ll16rocsparse_order_,"axG",@progbits,_ZN9rocsparseL28coommnn_general_block_reduceILj1024E21rocsparse_complex_numIdEiS2_EEvT1_S3_PKS3_PKT0_PT2_ll16rocsparse_order_,comdat
	.globl	_ZN9rocsparseL28coommnn_general_block_reduceILj1024E21rocsparse_complex_numIdEiS2_EEvT1_S3_PKS3_PKT0_PT2_ll16rocsparse_order_ ; -- Begin function _ZN9rocsparseL28coommnn_general_block_reduceILj1024E21rocsparse_complex_numIdEiS2_EEvT1_S3_PKS3_PKT0_PT2_ll16rocsparse_order_
	.p2align	8
	.type	_ZN9rocsparseL28coommnn_general_block_reduceILj1024E21rocsparse_complex_numIdEiS2_EEvT1_S3_PKS3_PKT0_PT2_ll16rocsparse_order_,@function
_ZN9rocsparseL28coommnn_general_block_reduceILj1024E21rocsparse_complex_numIdEiS2_EEvT1_S3_PKS3_PKT0_PT2_ll16rocsparse_order_: ; @_ZN9rocsparseL28coommnn_general_block_reduceILj1024E21rocsparse_complex_numIdEiS2_EEvT1_S3_PKS3_PKT0_PT2_ll16rocsparse_order_
; %bb.0:
	s_load_dwordx2 s[34:35], s[4:5], 0x0
	s_waitcnt lgkmcnt(0)
	s_cmp_lt_i32 s35, 1
	s_cbranch_scc1 .LBB6_53
; %bb.1:
	s_load_dwordx8 s[24:31], s[4:5], 0x8
	s_load_dwordx2 s[38:39], s[4:5], 0x28
	s_load_dword s36, s[4:5], 0x30
	s_mul_i32 s0, s7, s34
	s_add_i32 s0, s0, s6
	s_mov_b32 s34, s7
	s_waitcnt lgkmcnt(0)
	s_mul_i32 s39, s34, s39
	s_cmp_lg_u32 s36, 1
	s_cselect_b64 s[36:37], -1, 0
	s_ashr_i32 s40, s34, 31
	s_mul_hi_u32 s41, s34, s38
	s_mul_i32 s42, s7, s35
	s_ashr_i32 s7, s6, 31
	s_add_i32 s39, s41, s39
	s_mul_i32 s40, s40, s38
	s_add_i32 s39, s39, s40
	s_lshl_b64 s[40:41], s[6:7], 4
	s_mul_i32 s38, s34, s38
	s_add_u32 s34, s28, s40
	s_addc_u32 s44, s29, s41
	s_lshl_b64 s[40:41], s[38:39], 4
	s_add_u32 s34, s34, s40
	s_addc_u32 s38, s44, s41
	s_mul_i32 s39, s6, s31
	s_mul_hi_u32 s44, s6, s30
	s_add_i32 s39, s44, s39
	s_mul_i32 s7, s7, s30
	s_add_i32 s7, s39, s7
	s_mul_i32 s6, s6, s30
	s_lshl_b64 s[6:7], s[6:7], 4
	s_add_u32 s6, s28, s6
	s_addc_u32 s7, s29, s7
	v_lshlrev_b32_e32 v2, 2, v0
	s_mul_i32 s43, s0, s35
	v_lshlrev_b32_e32 v12, 4, v0
	s_movk_i32 s14, 0x7f
	s_movk_i32 s16, 0xff
	;; [unrolled: 1-line block ×4, first 2 shown]
	s_add_u32 s39, s6, s40
	v_or_b32_e32 v1, 0x4000, v2
	s_mov_b32 s33, 0
	v_cmp_ne_u32_e64 s[0:1], 0, v0
	v_add_u32_e32 v13, 0x3ffc, v2
	v_add_u32_e32 v14, -16, v12
	v_cmp_lt_u32_e64 s[2:3], 1, v0
	v_add_u32_e32 v15, 0x3ff8, v2
	v_subrev_u32_e32 v16, 32, v12
	v_cmp_lt_u32_e64 s[4:5], 3, v0
	v_add_u32_e32 v17, 0x3ff0, v2
	v_subrev_u32_e32 v18, 64, v12
	v_cmp_lt_u32_e64 s[22:23], 7, v0
	v_add_u32_e32 v19, 0x3fe0, v2
	v_add_u32_e32 v20, 0xffffff80, v12
	v_cmp_lt_u32_e64 s[8:9], 15, v0
	v_add_u32_e32 v21, 0x3fc0, v2
	v_add_u32_e32 v22, 0xffffff00, v12
	;; [unrolled: 3-line block ×7, first 2 shown]
	v_cmp_ne_u32_e64 s[20:21], s20, v0
	s_addc_u32 s40, s7, s41
	v_add_u32_e32 v33, s43, v0
	v_add_u32_e32 v34, s42, v0
	v_mov_b32_e32 v11, 0
	s_branch .LBB6_4
.LBB6_2:                                ;   in Loop: Header=BB6_4 Depth=1
	global_load_dwordx4 v[4:7], v[2:3], off
	ds_read_b128 v[36:39], v12
	s_waitcnt vmcnt(0) lgkmcnt(0)
	v_add_f64 v[4:5], v[36:37], v[4:5]
	v_add_f64 v[6:7], v[38:39], v[6:7]
	global_store_dwordx4 v[2:3], v[4:7], off
.LBB6_3:                                ;   in Loop: Header=BB6_4 Depth=1
	s_or_b64 exec, exec, s[6:7]
	s_addk_i32 s33, 0x400
	s_cmp_ge_i32 s33, s35
	s_barrier
	s_cbranch_scc1 .LBB6_53
.LBB6_4:                                ; =>This Inner Loop Header: Depth=1
	v_add_u32_e32 v2, s33, v0
	v_pk_mov_b32 v[4:5], 0, 0
	v_cmp_gt_i32_e32 vcc, s35, v2
	v_mov_b32_e32 v2, -1
	v_pk_mov_b32 v[8:9], v[4:5], v[4:5] op_sel:[0,1]
	v_pk_mov_b32 v[6:7], v[4:5], v[4:5] op_sel:[0,1]
	s_and_saveexec_b64 s[6:7], vcc
	s_cbranch_execz .LBB6_6
; %bb.5:                                ;   in Loop: Header=BB6_4 Depth=1
	v_add_u32_e32 v2, s33, v34
	v_ashrrev_i32_e32 v3, 31, v2
	v_lshlrev_b64 v[2:3], 2, v[2:3]
	v_mov_b32_e32 v6, s25
	v_add_co_u32_e32 v2, vcc, s24, v2
	v_addc_co_u32_e32 v3, vcc, v6, v3, vcc
	v_add_u32_e32 v6, s33, v33
	v_ashrrev_i32_e32 v7, 31, v6
	v_lshlrev_b64 v[6:7], 4, v[6:7]
	global_load_dword v2, v[2:3], off
	v_mov_b32_e32 v3, s27
	v_add_co_u32_e32 v6, vcc, s26, v6
	v_addc_co_u32_e32 v7, vcc, v3, v7, vcc
	global_load_dwordx4 v[6:9], v[6:7], off
.LBB6_6:                                ;   in Loop: Header=BB6_4 Depth=1
	s_or_b64 exec, exec, s[6:7]
	s_waitcnt vmcnt(1)
	ds_write_b32 v1, v2
	s_waitcnt vmcnt(0)
	ds_write_b128 v12, v[6:9]
	v_pk_mov_b32 v[2:3], v[4:5], v[4:5] op_sel:[0,1]
	s_waitcnt lgkmcnt(0)
	s_barrier
	s_and_saveexec_b64 s[6:7], s[0:1]
	s_cbranch_execz .LBB6_10
; %bb.7:                                ;   in Loop: Header=BB6_4 Depth=1
	ds_read2_b32 v[4:5], v13 offset1:1
	v_pk_mov_b32 v[2:3], 0, 0
	s_waitcnt lgkmcnt(0)
	v_cmp_eq_u32_e32 vcc, v5, v4
	v_pk_mov_b32 v[4:5], v[2:3], v[2:3] op_sel:[0,1]
	s_and_saveexec_b64 s[28:29], vcc
	s_cbranch_execz .LBB6_9
; %bb.8:                                ;   in Loop: Header=BB6_4 Depth=1
	ds_read_b128 v[2:5], v14
.LBB6_9:                                ;   in Loop: Header=BB6_4 Depth=1
	s_or_b64 exec, exec, s[28:29]
.LBB6_10:                               ;   in Loop: Header=BB6_4 Depth=1
	s_or_b64 exec, exec, s[6:7]
	s_waitcnt lgkmcnt(0)
	s_barrier
	ds_read_b128 v[6:9], v12
	s_waitcnt lgkmcnt(0)
	v_add_f64 v[2:3], v[2:3], v[6:7]
	v_add_f64 v[4:5], v[4:5], v[8:9]
	ds_write_b128 v12, v[2:5]
	v_pk_mov_b32 v[4:5], 0, 0
	v_pk_mov_b32 v[8:9], v[4:5], v[4:5] op_sel:[0,1]
	v_pk_mov_b32 v[6:7], v[4:5], v[4:5] op_sel:[0,1]
	s_waitcnt lgkmcnt(0)
	s_barrier
	s_and_saveexec_b64 s[6:7], s[2:3]
	s_cbranch_execz .LBB6_14
; %bb.11:                               ;   in Loop: Header=BB6_4 Depth=1
	ds_read_b32 v2, v1
	ds_read_b32 v3, v15
	v_pk_mov_b32 v[6:7], 0, 0
	v_pk_mov_b32 v[8:9], v[6:7], v[6:7] op_sel:[0,1]
	s_waitcnt lgkmcnt(0)
	v_cmp_eq_u32_e32 vcc, v2, v3
	s_and_saveexec_b64 s[28:29], vcc
	s_cbranch_execz .LBB6_13
; %bb.12:                               ;   in Loop: Header=BB6_4 Depth=1
	ds_read_b128 v[6:9], v16
.LBB6_13:                               ;   in Loop: Header=BB6_4 Depth=1
	s_or_b64 exec, exec, s[28:29]
.LBB6_14:                               ;   in Loop: Header=BB6_4 Depth=1
	s_or_b64 exec, exec, s[6:7]
	s_waitcnt lgkmcnt(0)
	s_barrier
	ds_read_b128 v[36:39], v12
	v_pk_mov_b32 v[2:3], v[4:5], v[4:5] op_sel:[0,1]
	s_waitcnt lgkmcnt(0)
	v_add_f64 v[6:7], v[6:7], v[36:37]
	v_add_f64 v[8:9], v[8:9], v[38:39]
	ds_write_b128 v12, v[6:9]
	s_waitcnt lgkmcnt(0)
	s_barrier
	s_and_saveexec_b64 s[6:7], s[4:5]
	s_cbranch_execz .LBB6_18
; %bb.15:                               ;   in Loop: Header=BB6_4 Depth=1
	ds_read_b32 v4, v1
	ds_read_b32 v5, v17
	v_pk_mov_b32 v[2:3], 0, 0
	s_waitcnt lgkmcnt(0)
	v_cmp_eq_u32_e32 vcc, v4, v5
	v_pk_mov_b32 v[4:5], v[2:3], v[2:3] op_sel:[0,1]
	s_and_saveexec_b64 s[28:29], vcc
	s_cbranch_execz .LBB6_17
; %bb.16:                               ;   in Loop: Header=BB6_4 Depth=1
	ds_read_b128 v[2:5], v18
.LBB6_17:                               ;   in Loop: Header=BB6_4 Depth=1
	s_or_b64 exec, exec, s[28:29]
.LBB6_18:                               ;   in Loop: Header=BB6_4 Depth=1
	s_or_b64 exec, exec, s[6:7]
	s_waitcnt lgkmcnt(0)
	s_barrier
	ds_read_b128 v[6:9], v12
	s_waitcnt lgkmcnt(0)
	v_add_f64 v[2:3], v[2:3], v[6:7]
	v_add_f64 v[4:5], v[4:5], v[8:9]
	ds_write_b128 v12, v[2:5]
	v_pk_mov_b32 v[4:5], 0, 0
	v_pk_mov_b32 v[8:9], v[4:5], v[4:5] op_sel:[0,1]
	v_pk_mov_b32 v[6:7], v[4:5], v[4:5] op_sel:[0,1]
	s_waitcnt lgkmcnt(0)
	s_barrier
	s_and_saveexec_b64 s[6:7], s[22:23]
	s_cbranch_execz .LBB6_22
; %bb.19:                               ;   in Loop: Header=BB6_4 Depth=1
	ds_read_b32 v2, v1
	ds_read_b32 v3, v19
	v_pk_mov_b32 v[6:7], 0, 0
	v_pk_mov_b32 v[8:9], v[6:7], v[6:7] op_sel:[0,1]
	s_waitcnt lgkmcnt(0)
	v_cmp_eq_u32_e32 vcc, v2, v3
	s_and_saveexec_b64 s[28:29], vcc
	s_cbranch_execz .LBB6_21
; %bb.20:                               ;   in Loop: Header=BB6_4 Depth=1
	ds_read_b128 v[6:9], v20
.LBB6_21:                               ;   in Loop: Header=BB6_4 Depth=1
	s_or_b64 exec, exec, s[28:29]
.LBB6_22:                               ;   in Loop: Header=BB6_4 Depth=1
	s_or_b64 exec, exec, s[6:7]
	s_waitcnt lgkmcnt(0)
	s_barrier
	ds_read_b128 v[36:39], v12
	v_pk_mov_b32 v[2:3], v[4:5], v[4:5] op_sel:[0,1]
	s_waitcnt lgkmcnt(0)
	v_add_f64 v[6:7], v[6:7], v[36:37]
	v_add_f64 v[8:9], v[8:9], v[38:39]
	ds_write_b128 v12, v[6:9]
	s_waitcnt lgkmcnt(0)
	s_barrier
	s_and_saveexec_b64 s[6:7], s[8:9]
	s_cbranch_execz .LBB6_26
; %bb.23:                               ;   in Loop: Header=BB6_4 Depth=1
	ds_read_b32 v4, v1
	ds_read_b32 v5, v21
	v_pk_mov_b32 v[2:3], 0, 0
	s_waitcnt lgkmcnt(0)
	v_cmp_eq_u32_e32 vcc, v4, v5
	v_pk_mov_b32 v[4:5], v[2:3], v[2:3] op_sel:[0,1]
	s_and_saveexec_b64 s[28:29], vcc
	s_cbranch_execz .LBB6_25
; %bb.24:                               ;   in Loop: Header=BB6_4 Depth=1
	ds_read_b128 v[2:5], v22
.LBB6_25:                               ;   in Loop: Header=BB6_4 Depth=1
	s_or_b64 exec, exec, s[28:29]
.LBB6_26:                               ;   in Loop: Header=BB6_4 Depth=1
	;; [unrolled: 56-line block ×4, first 2 shown]
	s_or_b64 exec, exec, s[6:7]
	s_waitcnt lgkmcnt(0)
	s_barrier
	ds_read_b128 v[6:9], v12
	s_waitcnt lgkmcnt(0)
	v_add_f64 v[2:3], v[2:3], v[6:7]
	v_add_f64 v[4:5], v[4:5], v[8:9]
	ds_write_b128 v12, v[2:5]
	v_pk_mov_b32 v[4:5], 0, 0
	v_pk_mov_b32 v[2:3], v[4:5], v[4:5] op_sel:[0,1]
	s_waitcnt lgkmcnt(0)
	s_barrier
	s_and_saveexec_b64 s[6:7], s[18:19]
	s_cbranch_execz .LBB6_46
; %bb.43:                               ;   in Loop: Header=BB6_4 Depth=1
	ds_read_b32 v4, v1
	ds_read_b32 v5, v31
	v_pk_mov_b32 v[2:3], 0, 0
	s_waitcnt lgkmcnt(0)
	v_cmp_eq_u32_e32 vcc, v4, v5
	v_pk_mov_b32 v[4:5], v[2:3], v[2:3] op_sel:[0,1]
	s_and_saveexec_b64 s[28:29], vcc
	s_cbranch_execz .LBB6_45
; %bb.44:                               ;   in Loop: Header=BB6_4 Depth=1
	ds_read_b128 v[2:5], v32
.LBB6_45:                               ;   in Loop: Header=BB6_4 Depth=1
	s_or_b64 exec, exec, s[28:29]
.LBB6_46:                               ;   in Loop: Header=BB6_4 Depth=1
	s_or_b64 exec, exec, s[6:7]
	s_waitcnt lgkmcnt(0)
	s_barrier
	ds_read_b128 v[6:9], v12
	s_waitcnt lgkmcnt(0)
	v_add_f64 v[2:3], v[2:3], v[6:7]
	v_add_f64 v[4:5], v[4:5], v[8:9]
	ds_write_b128 v12, v[2:5]
	s_waitcnt lgkmcnt(0)
	s_barrier
	ds_read_b32 v10, v1
	v_mov_b32_e32 v2, -1
	s_and_saveexec_b64 s[6:7], s[20:21]
	s_cbranch_execz .LBB6_48
; %bb.47:                               ;   in Loop: Header=BB6_4 Depth=1
	ds_read_b32 v2, v1 offset:4
.LBB6_48:                               ;   in Loop: Header=BB6_4 Depth=1
	s_or_b64 exec, exec, s[6:7]
	s_waitcnt lgkmcnt(0)
	v_cmp_ne_u32_e32 vcc, v10, v2
	v_cmp_lt_i32_e64 s[6:7], -1, v10
	s_and_b64 s[28:29], s[6:7], vcc
	s_and_saveexec_b64 s[6:7], s[28:29]
	s_cbranch_execz .LBB6_3
; %bb.49:                               ;   in Loop: Header=BB6_4 Depth=1
	s_and_b64 vcc, exec, s[36:37]
	s_cbranch_vccz .LBB6_51
; %bb.50:                               ;   in Loop: Header=BB6_4 Depth=1
	v_mad_u64_u32 v[2:3], s[28:29], v10, s30, 0
	v_mov_b32_e32 v4, v3
	v_mad_u64_u32 v[4:5], s[28:29], v10, s31, v[4:5]
	v_mov_b32_e32 v3, v4
	v_lshlrev_b64 v[2:3], 4, v[2:3]
	v_mov_b32_e32 v4, s38
	v_add_co_u32_e32 v2, vcc, s34, v2
	v_addc_co_u32_e32 v3, vcc, v4, v3, vcc
	s_cbranch_execnz .LBB6_2
	s_branch .LBB6_52
.LBB6_51:                               ;   in Loop: Header=BB6_4 Depth=1
                                        ; implicit-def: $vgpr2_vgpr3
.LBB6_52:                               ;   in Loop: Header=BB6_4 Depth=1
	v_lshlrev_b64 v[2:3], 4, v[10:11]
	v_mov_b32_e32 v4, s40
	v_add_co_u32_e32 v2, vcc, s39, v2
	v_addc_co_u32_e32 v3, vcc, v4, v3, vcc
	s_branch .LBB6_2
.LBB6_53:
	s_endpgm
	.section	.rodata,"a",@progbits
	.p2align	6, 0x0
	.amdhsa_kernel _ZN9rocsparseL28coommnn_general_block_reduceILj1024E21rocsparse_complex_numIdEiS2_EEvT1_S3_PKS3_PKT0_PT2_ll16rocsparse_order_
		.amdhsa_group_segment_fixed_size 20480
		.amdhsa_private_segment_fixed_size 0
		.amdhsa_kernarg_size 52
		.amdhsa_user_sgpr_count 6
		.amdhsa_user_sgpr_private_segment_buffer 1
		.amdhsa_user_sgpr_dispatch_ptr 0
		.amdhsa_user_sgpr_queue_ptr 0
		.amdhsa_user_sgpr_kernarg_segment_ptr 1
		.amdhsa_user_sgpr_dispatch_id 0
		.amdhsa_user_sgpr_flat_scratch_init 0
		.amdhsa_user_sgpr_kernarg_preload_length 0
		.amdhsa_user_sgpr_kernarg_preload_offset 0
		.amdhsa_user_sgpr_private_segment_size 0
		.amdhsa_uses_dynamic_stack 0
		.amdhsa_system_sgpr_private_segment_wavefront_offset 0
		.amdhsa_system_sgpr_workgroup_id_x 1
		.amdhsa_system_sgpr_workgroup_id_y 0
		.amdhsa_system_sgpr_workgroup_id_z 1
		.amdhsa_system_sgpr_workgroup_info 0
		.amdhsa_system_vgpr_workitem_id 0
		.amdhsa_next_free_vgpr 40
		.amdhsa_next_free_sgpr 45
		.amdhsa_accum_offset 40
		.amdhsa_reserve_vcc 1
		.amdhsa_reserve_flat_scratch 0
		.amdhsa_float_round_mode_32 0
		.amdhsa_float_round_mode_16_64 0
		.amdhsa_float_denorm_mode_32 3
		.amdhsa_float_denorm_mode_16_64 3
		.amdhsa_dx10_clamp 1
		.amdhsa_ieee_mode 1
		.amdhsa_fp16_overflow 0
		.amdhsa_tg_split 0
		.amdhsa_exception_fp_ieee_invalid_op 0
		.amdhsa_exception_fp_denorm_src 0
		.amdhsa_exception_fp_ieee_div_zero 0
		.amdhsa_exception_fp_ieee_overflow 0
		.amdhsa_exception_fp_ieee_underflow 0
		.amdhsa_exception_fp_ieee_inexact 0
		.amdhsa_exception_int_div_zero 0
	.end_amdhsa_kernel
	.section	.text._ZN9rocsparseL28coommnn_general_block_reduceILj1024E21rocsparse_complex_numIdEiS2_EEvT1_S3_PKS3_PKT0_PT2_ll16rocsparse_order_,"axG",@progbits,_ZN9rocsparseL28coommnn_general_block_reduceILj1024E21rocsparse_complex_numIdEiS2_EEvT1_S3_PKS3_PKT0_PT2_ll16rocsparse_order_,comdat
.Lfunc_end6:
	.size	_ZN9rocsparseL28coommnn_general_block_reduceILj1024E21rocsparse_complex_numIdEiS2_EEvT1_S3_PKS3_PKT0_PT2_ll16rocsparse_order_, .Lfunc_end6-_ZN9rocsparseL28coommnn_general_block_reduceILj1024E21rocsparse_complex_numIdEiS2_EEvT1_S3_PKS3_PKT0_PT2_ll16rocsparse_order_
                                        ; -- End function
	.section	.AMDGPU.csdata,"",@progbits
; Kernel info:
; codeLenInByte = 2212
; NumSgprs: 49
; NumVgprs: 40
; NumAgprs: 0
; TotalNumVgprs: 40
; ScratchSize: 0
; MemoryBound: 0
; FloatMode: 240
; IeeeMode: 1
; LDSByteSize: 20480 bytes/workgroup (compile time only)
; SGPRBlocks: 6
; VGPRBlocks: 4
; NumSGPRsForWavesPerEU: 49
; NumVGPRsForWavesPerEU: 40
; AccumOffset: 40
; Occupancy: 8
; WaveLimiterHint : 0
; COMPUTE_PGM_RSRC2:SCRATCH_EN: 0
; COMPUTE_PGM_RSRC2:USER_SGPR: 6
; COMPUTE_PGM_RSRC2:TRAP_HANDLER: 0
; COMPUTE_PGM_RSRC2:TGID_X_EN: 1
; COMPUTE_PGM_RSRC2:TGID_Y_EN: 0
; COMPUTE_PGM_RSRC2:TGID_Z_EN: 1
; COMPUTE_PGM_RSRC2:TIDIG_COMP_CNT: 0
; COMPUTE_PGM_RSRC3_GFX90A:ACCUM_OFFSET: 9
; COMPUTE_PGM_RSRC3_GFX90A:TG_SPLIT: 0
	.section	.text._ZN9rocsparseL28coommnn_general_block_reduceILj1024E21rocsparse_complex_numIdElS2_EEvT1_S3_PKS3_PKT0_PT2_ll16rocsparse_order_,"axG",@progbits,_ZN9rocsparseL28coommnn_general_block_reduceILj1024E21rocsparse_complex_numIdElS2_EEvT1_S3_PKS3_PKT0_PT2_ll16rocsparse_order_,comdat
	.globl	_ZN9rocsparseL28coommnn_general_block_reduceILj1024E21rocsparse_complex_numIdElS2_EEvT1_S3_PKS3_PKT0_PT2_ll16rocsparse_order_ ; -- Begin function _ZN9rocsparseL28coommnn_general_block_reduceILj1024E21rocsparse_complex_numIdElS2_EEvT1_S3_PKS3_PKT0_PT2_ll16rocsparse_order_
	.p2align	8
	.type	_ZN9rocsparseL28coommnn_general_block_reduceILj1024E21rocsparse_complex_numIdElS2_EEvT1_S3_PKS3_PKT0_PT2_ll16rocsparse_order_,@function
_ZN9rocsparseL28coommnn_general_block_reduceILj1024E21rocsparse_complex_numIdElS2_EEvT1_S3_PKS3_PKT0_PT2_ll16rocsparse_order_: ; @_ZN9rocsparseL28coommnn_general_block_reduceILj1024E21rocsparse_complex_numIdElS2_EEvT1_S3_PKS3_PKT0_PT2_ll16rocsparse_order_
; %bb.0:
	s_load_dwordx4 s[28:31], s[4:5], 0x0
	s_waitcnt lgkmcnt(0)
	v_cmp_lt_i64_e64 s[0:1], s[30:31], 1
	s_and_b64 vcc, exec, s[0:1]
	s_cbranch_vccnz .LBB7_53
; %bb.1:
	s_load_dwordx8 s[36:43], s[4:5], 0x10
	s_load_dwordx2 s[34:35], s[4:5], 0x30
	s_load_dword s25, s[4:5], 0x38
	s_mov_b32 s24, s7
	s_mov_b32 s7, 0
	s_lshl_b64 s[44:45], s[6:7], 4
	s_waitcnt lgkmcnt(0)
	s_add_u32 s7, s40, s44
	s_addc_u32 s48, s41, s45
	s_ashr_i32 s49, s24, 31
	s_cmp_lg_u32 s25, 1
	s_mul_i32 s25, s24, s35
	s_mul_hi_u32 s33, s24, s34
	s_cselect_b64 s[26:27], -1, 0
	s_add_i32 s25, s33, s25
	s_mul_i32 s33, s49, s34
	s_add_i32 s35, s25, s33
	s_mul_i32 s34, s24, s34
	s_lshl_b64 s[46:47], s[34:35], 4
	s_add_u32 s33, s7, s46
	s_mul_i32 s7, s6, s43
	s_mul_hi_u32 s25, s6, s42
	s_addc_u32 s34, s48, s47
	s_add_i32 s7, s25, s7
	s_mul_i32 s6, s6, s42
	s_lshl_b64 s[6:7], s[6:7], 4
	s_add_u32 s6, s40, s6
	s_addc_u32 s7, s41, s7
	s_add_u32 s35, s6, s46
	s_addc_u32 s40, s7, s47
	s_mul_hi_u32 s6, s28, s24
	s_mul_i32 s7, s28, s49
	s_add_i32 s6, s6, s7
	s_mul_i32 s7, s29, s24
	s_add_i32 s7, s6, s7
	s_mul_i32 s6, s28, s24
	s_lshl_b64 s[6:7], s[6:7], 4
	s_add_u32 s6, s6, s44
	s_addc_u32 s7, s7, s45
	s_mul_i32 s7, s30, s7
	s_mul_hi_u32 s25, s30, s6
	s_add_i32 s7, s25, s7
	s_mul_i32 s25, s31, s6
	s_add_i32 s7, s7, s25
	s_mul_i32 s6, s30, s6
	s_add_u32 s6, s38, s6
	v_lshlrev_b32_e32 v14, 4, v0
	s_addc_u32 s7, s39, s7
	v_mov_b32_e32 v3, s7
	v_add_co_u32_e32 v4, vcc, s6, v14
	s_mul_hi_u32 s6, s30, s24
	s_mul_i32 s7, s30, s49
	s_add_i32 s6, s6, s7
	s_mul_i32 s7, s31, s24
	s_add_i32 s7, s6, s7
	s_mul_i32 s6, s30, s24
	v_addc_co_u32_e32 v3, vcc, 0, v3, vcc
	s_lshl_b64 s[6:7], s[6:7], 3
	v_add_co_u32_e32 v10, vcc, 8, v4
	s_add_u32 s6, s36, s6
	v_lshlrev_b32_e32 v2, 3, v0
	v_addc_co_u32_e32 v11, vcc, 0, v3, vcc
	s_addc_u32 s7, s37, s7
	s_movk_i32 s14, 0x7f
	s_movk_i32 s16, 0xff
	;; [unrolled: 1-line block ×4, first 2 shown]
	v_mov_b32_e32 v3, s7
	v_add_co_u32_e32 v12, vcc, s6, v2
	v_or_b32_e32 v1, 0x4000, v2
	v_cmp_ne_u32_e64 s[0:1], 0, v0
	v_add_u32_e32 v15, 0x3ff8, v2
	v_add_u32_e32 v16, -16, v14
	v_cmp_lt_u32_e64 s[2:3], 1, v0
	v_add_u32_e32 v17, 0x3ff0, v2
	v_subrev_u32_e32 v18, 32, v14
	v_cmp_lt_u32_e64 s[4:5], 3, v0
	v_add_u32_e32 v19, 0x3fe0, v2
	v_subrev_u32_e32 v20, 64, v14
	v_cmp_lt_u32_e64 s[22:23], 7, v0
	v_add_u32_e32 v21, 0x3fc0, v2
	v_add_u32_e32 v22, 0xffffff80, v14
	v_cmp_lt_u32_e64 s[8:9], 15, v0
	v_add_u32_e32 v23, 0x3f80, v2
	v_add_u32_e32 v24, 0xffffff00, v14
	;; [unrolled: 3-line block ×7, first 2 shown]
	v_cmp_ne_u32_e64 s[20:21], s20, v0
	v_addc_co_u32_e32 v13, vcc, 0, v3, vcc
	s_mov_b64 s[24:25], 0
	s_branch .LBB7_4
.LBB7_2:                                ;   in Loop: Header=BB7_4 Depth=1
	global_load_dwordx4 v[6:9], v[4:5], off
	ds_read_b128 v[36:39], v14
	s_waitcnt vmcnt(0) lgkmcnt(0)
	v_add_f64 v[6:7], v[36:37], v[6:7]
	v_add_f64 v[8:9], v[38:39], v[8:9]
	global_store_dwordx4 v[4:5], v[6:9], off
.LBB7_3:                                ;   in Loop: Header=BB7_4 Depth=1
	s_or_b64 exec, exec, s[6:7]
	v_add_co_u32_e32 v10, vcc, 0x4000, v10
	v_addc_co_u32_e32 v11, vcc, 0, v11, vcc
	s_add_u32 s24, s24, 0x400
	v_add_co_u32_e32 v12, vcc, 0x2000, v12
	s_addc_u32 s25, s25, 0
	v_addc_co_u32_e32 v13, vcc, 0, v13, vcc
	v_pk_mov_b32 v[2:3], s[30:31], s[30:31] op_sel:[0,1]
	v_cmp_ge_i64_e32 vcc, s[24:25], v[2:3]
	s_barrier
	s_cbranch_vccnz .LBB7_53
.LBB7_4:                                ; =>This Inner Loop Header: Depth=1
	v_mov_b32_e32 v3, s25
	v_add_co_u32_e32 v2, vcc, s24, v0
	v_addc_co_u32_e32 v3, vcc, 0, v3, vcc
	v_pk_mov_b32 v[4:5], 0, 0
	v_cmp_gt_i64_e32 vcc, s[30:31], v[2:3]
	v_pk_mov_b32 v[2:3], -1, -1
	v_pk_mov_b32 v[8:9], v[4:5], v[4:5] op_sel:[0,1]
	v_pk_mov_b32 v[6:7], v[4:5], v[4:5] op_sel:[0,1]
	s_and_saveexec_b64 s[6:7], vcc
	s_cbranch_execz .LBB7_6
; %bb.5:                                ;   in Loop: Header=BB7_4 Depth=1
	global_load_dwordx2 v[2:3], v[12:13], off
	global_load_dwordx4 v[6:9], v[10:11], off offset:-8
.LBB7_6:                                ;   in Loop: Header=BB7_4 Depth=1
	s_or_b64 exec, exec, s[6:7]
	s_waitcnt vmcnt(1)
	ds_write_b64 v1, v[2:3]
	s_waitcnt vmcnt(0)
	ds_write_b128 v14, v[6:9]
	v_pk_mov_b32 v[2:3], v[4:5], v[4:5] op_sel:[0,1]
	s_waitcnt lgkmcnt(0)
	s_barrier
	s_and_saveexec_b64 s[6:7], s[0:1]
	s_cbranch_execz .LBB7_10
; %bb.7:                                ;   in Loop: Header=BB7_4 Depth=1
	ds_read2_b64 v[4:7], v15 offset1:1
	v_pk_mov_b32 v[2:3], 0, 0
	s_waitcnt lgkmcnt(0)
	v_cmp_eq_u64_e32 vcc, v[6:7], v[4:5]
	v_pk_mov_b32 v[4:5], v[2:3], v[2:3] op_sel:[0,1]
	s_and_saveexec_b64 s[28:29], vcc
	s_cbranch_execz .LBB7_9
; %bb.8:                                ;   in Loop: Header=BB7_4 Depth=1
	ds_read_b128 v[2:5], v16
.LBB7_9:                                ;   in Loop: Header=BB7_4 Depth=1
	s_or_b64 exec, exec, s[28:29]
.LBB7_10:                               ;   in Loop: Header=BB7_4 Depth=1
	s_or_b64 exec, exec, s[6:7]
	s_waitcnt lgkmcnt(0)
	s_barrier
	ds_read_b128 v[6:9], v14
	s_waitcnt lgkmcnt(0)
	v_add_f64 v[2:3], v[2:3], v[6:7]
	v_add_f64 v[4:5], v[4:5], v[8:9]
	ds_write_b128 v14, v[2:5]
	v_pk_mov_b32 v[4:5], 0, 0
	v_pk_mov_b32 v[8:9], v[4:5], v[4:5] op_sel:[0,1]
	v_pk_mov_b32 v[6:7], v[4:5], v[4:5] op_sel:[0,1]
	s_waitcnt lgkmcnt(0)
	s_barrier
	s_and_saveexec_b64 s[6:7], s[2:3]
	s_cbranch_execz .LBB7_14
; %bb.11:                               ;   in Loop: Header=BB7_4 Depth=1
	ds_read_b64 v[2:3], v1
	ds_read_b64 v[8:9], v17
	v_pk_mov_b32 v[6:7], 0, 0
	s_waitcnt lgkmcnt(0)
	v_cmp_eq_u64_e32 vcc, v[2:3], v[8:9]
	v_pk_mov_b32 v[8:9], v[6:7], v[6:7] op_sel:[0,1]
	s_and_saveexec_b64 s[28:29], vcc
	s_cbranch_execz .LBB7_13
; %bb.12:                               ;   in Loop: Header=BB7_4 Depth=1
	ds_read_b128 v[6:9], v18
.LBB7_13:                               ;   in Loop: Header=BB7_4 Depth=1
	s_or_b64 exec, exec, s[28:29]
.LBB7_14:                               ;   in Loop: Header=BB7_4 Depth=1
	s_or_b64 exec, exec, s[6:7]
	s_waitcnt lgkmcnt(0)
	s_barrier
	ds_read_b128 v[36:39], v14
	v_pk_mov_b32 v[2:3], v[4:5], v[4:5] op_sel:[0,1]
	s_waitcnt lgkmcnt(0)
	v_add_f64 v[6:7], v[6:7], v[36:37]
	v_add_f64 v[8:9], v[8:9], v[38:39]
	ds_write_b128 v14, v[6:9]
	s_waitcnt lgkmcnt(0)
	s_barrier
	s_and_saveexec_b64 s[6:7], s[4:5]
	s_cbranch_execz .LBB7_18
; %bb.15:                               ;   in Loop: Header=BB7_4 Depth=1
	ds_read_b64 v[4:5], v1
	ds_read_b64 v[6:7], v19
	v_pk_mov_b32 v[2:3], 0, 0
	s_waitcnt lgkmcnt(0)
	v_cmp_eq_u64_e32 vcc, v[4:5], v[6:7]
	v_pk_mov_b32 v[4:5], v[2:3], v[2:3] op_sel:[0,1]
	s_and_saveexec_b64 s[28:29], vcc
	s_cbranch_execz .LBB7_17
; %bb.16:                               ;   in Loop: Header=BB7_4 Depth=1
	ds_read_b128 v[2:5], v20
.LBB7_17:                               ;   in Loop: Header=BB7_4 Depth=1
	s_or_b64 exec, exec, s[28:29]
.LBB7_18:                               ;   in Loop: Header=BB7_4 Depth=1
	s_or_b64 exec, exec, s[6:7]
	s_waitcnt lgkmcnt(0)
	s_barrier
	ds_read_b128 v[6:9], v14
	s_waitcnt lgkmcnt(0)
	v_add_f64 v[2:3], v[2:3], v[6:7]
	v_add_f64 v[4:5], v[4:5], v[8:9]
	ds_write_b128 v14, v[2:5]
	v_pk_mov_b32 v[4:5], 0, 0
	v_pk_mov_b32 v[8:9], v[4:5], v[4:5] op_sel:[0,1]
	v_pk_mov_b32 v[6:7], v[4:5], v[4:5] op_sel:[0,1]
	s_waitcnt lgkmcnt(0)
	s_barrier
	s_and_saveexec_b64 s[6:7], s[22:23]
	s_cbranch_execz .LBB7_22
; %bb.19:                               ;   in Loop: Header=BB7_4 Depth=1
	ds_read_b64 v[2:3], v1
	ds_read_b64 v[8:9], v21
	v_pk_mov_b32 v[6:7], 0, 0
	s_waitcnt lgkmcnt(0)
	v_cmp_eq_u64_e32 vcc, v[2:3], v[8:9]
	v_pk_mov_b32 v[8:9], v[6:7], v[6:7] op_sel:[0,1]
	s_and_saveexec_b64 s[28:29], vcc
	s_cbranch_execz .LBB7_21
; %bb.20:                               ;   in Loop: Header=BB7_4 Depth=1
	ds_read_b128 v[6:9], v22
.LBB7_21:                               ;   in Loop: Header=BB7_4 Depth=1
	s_or_b64 exec, exec, s[28:29]
.LBB7_22:                               ;   in Loop: Header=BB7_4 Depth=1
	s_or_b64 exec, exec, s[6:7]
	s_waitcnt lgkmcnt(0)
	s_barrier
	ds_read_b128 v[36:39], v14
	v_pk_mov_b32 v[2:3], v[4:5], v[4:5] op_sel:[0,1]
	s_waitcnt lgkmcnt(0)
	v_add_f64 v[6:7], v[6:7], v[36:37]
	v_add_f64 v[8:9], v[8:9], v[38:39]
	ds_write_b128 v14, v[6:9]
	s_waitcnt lgkmcnt(0)
	s_barrier
	s_and_saveexec_b64 s[6:7], s[8:9]
	s_cbranch_execz .LBB7_26
; %bb.23:                               ;   in Loop: Header=BB7_4 Depth=1
	ds_read_b64 v[4:5], v1
	ds_read_b64 v[6:7], v23
	v_pk_mov_b32 v[2:3], 0, 0
	s_waitcnt lgkmcnt(0)
	v_cmp_eq_u64_e32 vcc, v[4:5], v[6:7]
	v_pk_mov_b32 v[4:5], v[2:3], v[2:3] op_sel:[0,1]
	s_and_saveexec_b64 s[28:29], vcc
	s_cbranch_execz .LBB7_25
; %bb.24:                               ;   in Loop: Header=BB7_4 Depth=1
	ds_read_b128 v[2:5], v24
.LBB7_25:                               ;   in Loop: Header=BB7_4 Depth=1
	s_or_b64 exec, exec, s[28:29]
.LBB7_26:                               ;   in Loop: Header=BB7_4 Depth=1
	;; [unrolled: 56-line block ×4, first 2 shown]
	s_or_b64 exec, exec, s[6:7]
	s_waitcnt lgkmcnt(0)
	s_barrier
	ds_read_b128 v[6:9], v14
	s_waitcnt lgkmcnt(0)
	v_add_f64 v[2:3], v[2:3], v[6:7]
	v_add_f64 v[4:5], v[4:5], v[8:9]
	ds_write_b128 v14, v[2:5]
	v_pk_mov_b32 v[4:5], 0, 0
	v_pk_mov_b32 v[2:3], v[4:5], v[4:5] op_sel:[0,1]
	s_waitcnt lgkmcnt(0)
	s_barrier
	s_and_saveexec_b64 s[6:7], s[18:19]
	s_cbranch_execz .LBB7_46
; %bb.43:                               ;   in Loop: Header=BB7_4 Depth=1
	ds_read_b64 v[4:5], v1
	ds_read_b64 v[6:7], v33
	v_pk_mov_b32 v[2:3], 0, 0
	s_waitcnt lgkmcnt(0)
	v_cmp_eq_u64_e32 vcc, v[4:5], v[6:7]
	v_pk_mov_b32 v[4:5], v[2:3], v[2:3] op_sel:[0,1]
	s_and_saveexec_b64 s[28:29], vcc
	s_cbranch_execz .LBB7_45
; %bb.44:                               ;   in Loop: Header=BB7_4 Depth=1
	ds_read_b128 v[2:5], v34
.LBB7_45:                               ;   in Loop: Header=BB7_4 Depth=1
	s_or_b64 exec, exec, s[28:29]
.LBB7_46:                               ;   in Loop: Header=BB7_4 Depth=1
	s_or_b64 exec, exec, s[6:7]
	s_waitcnt lgkmcnt(0)
	s_barrier
	ds_read_b128 v[6:9], v14
	s_waitcnt lgkmcnt(0)
	v_add_f64 v[2:3], v[2:3], v[6:7]
	v_add_f64 v[4:5], v[4:5], v[8:9]
	ds_write_b128 v14, v[2:5]
	s_waitcnt lgkmcnt(0)
	s_barrier
	ds_read_b64 v[2:3], v1
	v_pk_mov_b32 v[4:5], -1, -1
	s_and_saveexec_b64 s[6:7], s[20:21]
	s_cbranch_execz .LBB7_48
; %bb.47:                               ;   in Loop: Header=BB7_4 Depth=1
	ds_read_b64 v[4:5], v1 offset:8
.LBB7_48:                               ;   in Loop: Header=BB7_4 Depth=1
	s_or_b64 exec, exec, s[6:7]
	s_waitcnt lgkmcnt(0)
	v_cmp_ne_u64_e32 vcc, v[2:3], v[4:5]
	v_cmp_lt_i64_e64 s[6:7], -1, v[2:3]
	s_and_b64 s[28:29], s[6:7], vcc
	s_and_saveexec_b64 s[6:7], s[28:29]
	s_cbranch_execz .LBB7_3
; %bb.49:                               ;   in Loop: Header=BB7_4 Depth=1
	s_and_b64 vcc, exec, s[26:27]
	s_cbranch_vccz .LBB7_51
; %bb.50:                               ;   in Loop: Header=BB7_4 Depth=1
	v_mul_lo_u32 v6, v3, s42
	v_mul_lo_u32 v7, v2, s43
	v_mad_u64_u32 v[4:5], s[28:29], v2, s42, 0
	v_add3_u32 v5, v5, v7, v6
	v_lshlrev_b64 v[4:5], 4, v[4:5]
	v_mov_b32_e32 v6, s34
	v_add_co_u32_e32 v4, vcc, s33, v4
	v_addc_co_u32_e32 v5, vcc, v6, v5, vcc
	s_cbranch_execnz .LBB7_2
	s_branch .LBB7_52
.LBB7_51:                               ;   in Loop: Header=BB7_4 Depth=1
                                        ; implicit-def: $vgpr4_vgpr5
.LBB7_52:                               ;   in Loop: Header=BB7_4 Depth=1
	v_lshlrev_b64 v[2:3], 4, v[2:3]
	v_mov_b32_e32 v5, s40
	v_add_co_u32_e32 v4, vcc, s35, v2
	v_addc_co_u32_e32 v5, vcc, v5, v3, vcc
	s_branch .LBB7_2
.LBB7_53:
	s_endpgm
	.section	.rodata,"a",@progbits
	.p2align	6, 0x0
	.amdhsa_kernel _ZN9rocsparseL28coommnn_general_block_reduceILj1024E21rocsparse_complex_numIdElS2_EEvT1_S3_PKS3_PKT0_PT2_ll16rocsparse_order_
		.amdhsa_group_segment_fixed_size 24576
		.amdhsa_private_segment_fixed_size 0
		.amdhsa_kernarg_size 60
		.amdhsa_user_sgpr_count 6
		.amdhsa_user_sgpr_private_segment_buffer 1
		.amdhsa_user_sgpr_dispatch_ptr 0
		.amdhsa_user_sgpr_queue_ptr 0
		.amdhsa_user_sgpr_kernarg_segment_ptr 1
		.amdhsa_user_sgpr_dispatch_id 0
		.amdhsa_user_sgpr_flat_scratch_init 0
		.amdhsa_user_sgpr_kernarg_preload_length 0
		.amdhsa_user_sgpr_kernarg_preload_offset 0
		.amdhsa_user_sgpr_private_segment_size 0
		.amdhsa_uses_dynamic_stack 0
		.amdhsa_system_sgpr_private_segment_wavefront_offset 0
		.amdhsa_system_sgpr_workgroup_id_x 1
		.amdhsa_system_sgpr_workgroup_id_y 0
		.amdhsa_system_sgpr_workgroup_id_z 1
		.amdhsa_system_sgpr_workgroup_info 0
		.amdhsa_system_vgpr_workitem_id 0
		.amdhsa_next_free_vgpr 40
		.amdhsa_next_free_sgpr 50
		.amdhsa_accum_offset 40
		.amdhsa_reserve_vcc 1
		.amdhsa_reserve_flat_scratch 0
		.amdhsa_float_round_mode_32 0
		.amdhsa_float_round_mode_16_64 0
		.amdhsa_float_denorm_mode_32 3
		.amdhsa_float_denorm_mode_16_64 3
		.amdhsa_dx10_clamp 1
		.amdhsa_ieee_mode 1
		.amdhsa_fp16_overflow 0
		.amdhsa_tg_split 0
		.amdhsa_exception_fp_ieee_invalid_op 0
		.amdhsa_exception_fp_denorm_src 0
		.amdhsa_exception_fp_ieee_div_zero 0
		.amdhsa_exception_fp_ieee_overflow 0
		.amdhsa_exception_fp_ieee_underflow 0
		.amdhsa_exception_fp_ieee_inexact 0
		.amdhsa_exception_int_div_zero 0
	.end_amdhsa_kernel
	.section	.text._ZN9rocsparseL28coommnn_general_block_reduceILj1024E21rocsparse_complex_numIdElS2_EEvT1_S3_PKS3_PKT0_PT2_ll16rocsparse_order_,"axG",@progbits,_ZN9rocsparseL28coommnn_general_block_reduceILj1024E21rocsparse_complex_numIdElS2_EEvT1_S3_PKS3_PKT0_PT2_ll16rocsparse_order_,comdat
.Lfunc_end7:
	.size	_ZN9rocsparseL28coommnn_general_block_reduceILj1024E21rocsparse_complex_numIdElS2_EEvT1_S3_PKS3_PKT0_PT2_ll16rocsparse_order_, .Lfunc_end7-_ZN9rocsparseL28coommnn_general_block_reduceILj1024E21rocsparse_complex_numIdElS2_EEvT1_S3_PKS3_PKT0_PT2_ll16rocsparse_order_
                                        ; -- End function
	.section	.AMDGPU.csdata,"",@progbits
; Kernel info:
; codeLenInByte = 2328
; NumSgprs: 54
; NumVgprs: 40
; NumAgprs: 0
; TotalNumVgprs: 40
; ScratchSize: 0
; MemoryBound: 1
; FloatMode: 240
; IeeeMode: 1
; LDSByteSize: 24576 bytes/workgroup (compile time only)
; SGPRBlocks: 6
; VGPRBlocks: 4
; NumSGPRsForWavesPerEU: 54
; NumVGPRsForWavesPerEU: 40
; AccumOffset: 40
; Occupancy: 8
; WaveLimiterHint : 0
; COMPUTE_PGM_RSRC2:SCRATCH_EN: 0
; COMPUTE_PGM_RSRC2:USER_SGPR: 6
; COMPUTE_PGM_RSRC2:TRAP_HANDLER: 0
; COMPUTE_PGM_RSRC2:TGID_X_EN: 1
; COMPUTE_PGM_RSRC2:TGID_Y_EN: 0
; COMPUTE_PGM_RSRC2:TGID_Z_EN: 1
; COMPUTE_PGM_RSRC2:TIDIG_COMP_CNT: 0
; COMPUTE_PGM_RSRC3_GFX90A:ACCUM_OFFSET: 9
; COMPUTE_PGM_RSRC3_GFX90A:TG_SPLIT: 0
	.section	.text._ZN9rocsparseL28coommnn_general_block_reduceILj1024EiiiEEvT1_S1_PKS1_PKT0_PT2_ll16rocsparse_order_,"axG",@progbits,_ZN9rocsparseL28coommnn_general_block_reduceILj1024EiiiEEvT1_S1_PKS1_PKT0_PT2_ll16rocsparse_order_,comdat
	.globl	_ZN9rocsparseL28coommnn_general_block_reduceILj1024EiiiEEvT1_S1_PKS1_PKT0_PT2_ll16rocsparse_order_ ; -- Begin function _ZN9rocsparseL28coommnn_general_block_reduceILj1024EiiiEEvT1_S1_PKS1_PKT0_PT2_ll16rocsparse_order_
	.p2align	8
	.type	_ZN9rocsparseL28coommnn_general_block_reduceILj1024EiiiEEvT1_S1_PKS1_PKT0_PT2_ll16rocsparse_order_,@function
_ZN9rocsparseL28coommnn_general_block_reduceILj1024EiiiEEvT1_S1_PKS1_PKT0_PT2_ll16rocsparse_order_: ; @_ZN9rocsparseL28coommnn_general_block_reduceILj1024EiiiEEvT1_S1_PKS1_PKT0_PT2_ll16rocsparse_order_
; %bb.0:
	s_load_dwordx2 s[34:35], s[4:5], 0x0
	s_waitcnt lgkmcnt(0)
	s_cmp_lt_i32 s35, 1
	s_cbranch_scc1 .LBB8_53
; %bb.1:
	s_load_dwordx8 s[24:31], s[4:5], 0x8
	s_load_dwordx2 s[38:39], s[4:5], 0x28
	s_load_dword s36, s[4:5], 0x30
	s_mul_i32 s0, s7, s34
	s_add_i32 s0, s0, s6
	s_mov_b32 s34, s7
	s_waitcnt lgkmcnt(0)
	s_mul_i32 s39, s34, s39
	s_cmp_lg_u32 s36, 1
	s_cselect_b64 s[36:37], -1, 0
	s_ashr_i32 s40, s34, 31
	s_mul_hi_u32 s41, s34, s38
	s_mul_i32 s42, s7, s35
	s_ashr_i32 s7, s6, 31
	s_add_i32 s39, s41, s39
	s_mul_i32 s40, s40, s38
	s_add_i32 s39, s39, s40
	s_lshl_b64 s[40:41], s[6:7], 2
	s_mul_i32 s38, s34, s38
	s_add_u32 s34, s28, s40
	s_addc_u32 s44, s29, s41
	s_lshl_b64 s[40:41], s[38:39], 2
	s_add_u32 s34, s34, s40
	s_addc_u32 s38, s44, s41
	s_mul_i32 s39, s6, s31
	s_mul_hi_u32 s44, s6, s30
	s_add_i32 s39, s44, s39
	s_mul_i32 s7, s7, s30
	s_add_i32 s7, s39, s7
	s_mul_i32 s6, s6, s30
	s_lshl_b64 s[6:7], s[6:7], 2
	s_add_u32 s6, s28, s6
	s_addc_u32 s7, s29, s7
	v_lshlrev_b32_e32 v1, 2, v0
	s_mul_i32 s43, s0, s35
	s_movk_i32 s14, 0x7f
	s_movk_i32 s16, 0xff
	;; [unrolled: 1-line block ×4, first 2 shown]
	s_add_u32 s39, s6, s40
	v_or_b32_e32 v6, 0x1000, v1
	s_mov_b32 s33, 0
	v_cmp_ne_u32_e64 s[0:1], 0, v0
	v_add_u32_e32 v7, -4, v1
	v_add_u32_e32 v8, 0xffc, v1
	v_cmp_lt_u32_e64 s[2:3], 1, v0
	v_add_u32_e32 v9, -8, v1
	v_add_u32_e32 v10, 0xff8, v1
	v_cmp_lt_u32_e64 s[4:5], 3, v0
	;; [unrolled: 3-line block ×3, first 2 shown]
	v_subrev_u32_e32 v13, 32, v1
	v_add_u32_e32 v14, 0xfe0, v1
	v_cmp_lt_u32_e64 s[8:9], 15, v0
	v_subrev_u32_e32 v15, 64, v1
	v_add_u32_e32 v16, 0xfc0, v1
	v_cmp_lt_u32_e64 s[10:11], 31, v0
	v_add_u32_e32 v17, 0xffffff80, v1
	v_add_u32_e32 v18, 0xf80, v1
	v_cmp_lt_u32_e64 s[12:13], 63, v0
	v_add_u32_e32 v19, 0xffffff00, v1
	v_add_u32_e32 v20, 0xf00, v1
	v_cmp_lt_u32_e64 s[14:15], s14, v0
	v_add_u32_e32 v21, 0xfffffe00, v1
	v_add_u32_e32 v22, 0xe00, v1
	v_cmp_lt_u32_e64 s[16:17], s16, v0
	v_add_u32_e32 v23, 0xfffffc00, v1
	v_add_u32_e32 v24, 0xc00, v1
	v_cmp_lt_u32_e64 s[18:19], s18, v0
	v_add_u32_e32 v25, 0xfffff800, v1
	v_add_u32_e32 v26, 0x800, v1
	v_cmp_ne_u32_e64 s[20:21], s20, v0
	s_addc_u32 s40, s7, s41
	v_add_u32_e32 v27, s43, v0
	v_add_u32_e32 v28, s42, v0
	v_mov_b32_e32 v3, 0
	s_branch .LBB8_4
.LBB8_2:                                ;   in Loop: Header=BB8_4 Depth=1
	global_load_dword v2, v[4:5], off
	s_waitcnt vmcnt(0) lgkmcnt(0)
	v_add_u32_e32 v2, v2, v29
	global_store_dword v[4:5], v2, off
.LBB8_3:                                ;   in Loop: Header=BB8_4 Depth=1
	s_or_b64 exec, exec, s[6:7]
	s_addk_i32 s33, 0x400
	s_cmp_ge_i32 s33, s35
	s_barrier
	s_cbranch_scc1 .LBB8_53
.LBB8_4:                                ; =>This Inner Loop Header: Depth=1
	v_add_u32_e32 v2, s33, v0
	v_cmp_gt_i32_e32 vcc, s35, v2
	v_mov_b32_e32 v2, -1
	v_mov_b32_e32 v4, 0
	s_and_saveexec_b64 s[6:7], vcc
	s_cbranch_execz .LBB8_6
; %bb.5:                                ;   in Loop: Header=BB8_4 Depth=1
	v_add_u32_e32 v4, s33, v28
	v_ashrrev_i32_e32 v5, 31, v4
	v_lshlrev_b64 v[4:5], 2, v[4:5]
	v_mov_b32_e32 v2, s25
	v_add_co_u32_e32 v4, vcc, s24, v4
	v_addc_co_u32_e32 v5, vcc, v2, v5, vcc
	global_load_dword v2, v[4:5], off
	v_add_u32_e32 v4, s33, v27
	v_ashrrev_i32_e32 v5, 31, v4
	v_lshlrev_b64 v[4:5], 2, v[4:5]
	v_mov_b32_e32 v29, s27
	v_add_co_u32_e32 v4, vcc, s26, v4
	v_addc_co_u32_e32 v5, vcc, v29, v5, vcc
	global_load_dword v4, v[4:5], off
.LBB8_6:                                ;   in Loop: Header=BB8_4 Depth=1
	s_or_b64 exec, exec, s[6:7]
	s_waitcnt vmcnt(1)
	ds_write_b32 v1, v2
	s_waitcnt vmcnt(0)
	ds_write_b32 v6, v4
	v_mov_b32_e32 v2, 0
	v_mov_b32_e32 v4, 0
	s_waitcnt lgkmcnt(0)
	s_barrier
	s_and_saveexec_b64 s[6:7], s[0:1]
	s_cbranch_execz .LBB8_10
; %bb.7:                                ;   in Loop: Header=BB8_4 Depth=1
	ds_read2_b32 v[4:5], v7 offset1:1
	s_waitcnt lgkmcnt(0)
	v_cmp_eq_u32_e32 vcc, v5, v4
	v_mov_b32_e32 v4, 0
	s_and_saveexec_b64 s[28:29], vcc
	s_cbranch_execz .LBB8_9
; %bb.8:                                ;   in Loop: Header=BB8_4 Depth=1
	ds_read_b32 v4, v8
.LBB8_9:                                ;   in Loop: Header=BB8_4 Depth=1
	s_or_b64 exec, exec, s[28:29]
.LBB8_10:                               ;   in Loop: Header=BB8_4 Depth=1
	s_or_b64 exec, exec, s[6:7]
	s_waitcnt lgkmcnt(0)
	s_barrier
	ds_read_b32 v5, v6
	s_waitcnt lgkmcnt(0)
	v_add_u32_e32 v4, v5, v4
	ds_write_b32 v6, v4
	s_waitcnt lgkmcnt(0)
	s_barrier
	s_and_saveexec_b64 s[6:7], s[2:3]
	s_cbranch_execz .LBB8_14
; %bb.11:                               ;   in Loop: Header=BB8_4 Depth=1
	ds_read_b32 v2, v1
	ds_read_b32 v4, v9
	s_waitcnt lgkmcnt(0)
	v_cmp_eq_u32_e32 vcc, v2, v4
	v_mov_b32_e32 v2, 0
	s_and_saveexec_b64 s[28:29], vcc
	s_cbranch_execz .LBB8_13
; %bb.12:                               ;   in Loop: Header=BB8_4 Depth=1
	ds_read_b32 v2, v10
.LBB8_13:                               ;   in Loop: Header=BB8_4 Depth=1
	s_or_b64 exec, exec, s[28:29]
.LBB8_14:                               ;   in Loop: Header=BB8_4 Depth=1
	s_or_b64 exec, exec, s[6:7]
	s_waitcnt lgkmcnt(0)
	s_barrier
	ds_read_b32 v4, v6
	s_waitcnt lgkmcnt(0)
	v_add_u32_e32 v2, v4, v2
	ds_write_b32 v6, v2
	v_mov_b32_e32 v2, 0
	v_mov_b32_e32 v4, 0
	s_waitcnt lgkmcnt(0)
	s_barrier
	s_and_saveexec_b64 s[6:7], s[4:5]
	s_cbranch_execz .LBB8_18
; %bb.15:                               ;   in Loop: Header=BB8_4 Depth=1
	ds_read_b32 v4, v1
	ds_read_b32 v5, v11
	s_waitcnt lgkmcnt(0)
	v_cmp_eq_u32_e32 vcc, v4, v5
	v_mov_b32_e32 v4, 0
	s_and_saveexec_b64 s[28:29], vcc
	s_cbranch_execz .LBB8_17
; %bb.16:                               ;   in Loop: Header=BB8_4 Depth=1
	ds_read_b32 v4, v12
.LBB8_17:                               ;   in Loop: Header=BB8_4 Depth=1
	s_or_b64 exec, exec, s[28:29]
.LBB8_18:                               ;   in Loop: Header=BB8_4 Depth=1
	s_or_b64 exec, exec, s[6:7]
	s_waitcnt lgkmcnt(0)
	s_barrier
	ds_read_b32 v5, v6
	s_waitcnt lgkmcnt(0)
	v_add_u32_e32 v4, v5, v4
	ds_write_b32 v6, v4
	s_waitcnt lgkmcnt(0)
	s_barrier
	s_and_saveexec_b64 s[6:7], s[22:23]
	s_cbranch_execz .LBB8_22
; %bb.19:                               ;   in Loop: Header=BB8_4 Depth=1
	ds_read_b32 v2, v1
	ds_read_b32 v4, v13
	s_waitcnt lgkmcnt(0)
	v_cmp_eq_u32_e32 vcc, v2, v4
	v_mov_b32_e32 v2, 0
	s_and_saveexec_b64 s[28:29], vcc
	s_cbranch_execz .LBB8_21
; %bb.20:                               ;   in Loop: Header=BB8_4 Depth=1
	ds_read_b32 v2, v14
.LBB8_21:                               ;   in Loop: Header=BB8_4 Depth=1
	s_or_b64 exec, exec, s[28:29]
.LBB8_22:                               ;   in Loop: Header=BB8_4 Depth=1
	s_or_b64 exec, exec, s[6:7]
	s_waitcnt lgkmcnt(0)
	s_barrier
	ds_read_b32 v4, v6
	s_waitcnt lgkmcnt(0)
	v_add_u32_e32 v2, v4, v2
	ds_write_b32 v6, v2
	v_mov_b32_e32 v2, 0
	v_mov_b32_e32 v4, 0
	s_waitcnt lgkmcnt(0)
	s_barrier
	s_and_saveexec_b64 s[6:7], s[8:9]
	s_cbranch_execz .LBB8_26
; %bb.23:                               ;   in Loop: Header=BB8_4 Depth=1
	ds_read_b32 v4, v1
	ds_read_b32 v5, v15
	s_waitcnt lgkmcnt(0)
	v_cmp_eq_u32_e32 vcc, v4, v5
	v_mov_b32_e32 v4, 0
	s_and_saveexec_b64 s[28:29], vcc
	s_cbranch_execz .LBB8_25
; %bb.24:                               ;   in Loop: Header=BB8_4 Depth=1
	ds_read_b32 v4, v16
.LBB8_25:                               ;   in Loop: Header=BB8_4 Depth=1
	s_or_b64 exec, exec, s[28:29]
.LBB8_26:                               ;   in Loop: Header=BB8_4 Depth=1
	;; [unrolled: 50-line block ×4, first 2 shown]
	s_or_b64 exec, exec, s[6:7]
	s_waitcnt lgkmcnt(0)
	s_barrier
	ds_read_b32 v5, v6
	s_waitcnt lgkmcnt(0)
	v_add_u32_e32 v4, v5, v4
	ds_write_b32 v6, v4
	s_waitcnt lgkmcnt(0)
	s_barrier
	s_and_saveexec_b64 s[6:7], s[18:19]
	s_cbranch_execz .LBB8_46
; %bb.43:                               ;   in Loop: Header=BB8_4 Depth=1
	ds_read_b32 v2, v1
	ds_read_b32 v4, v25
	s_waitcnt lgkmcnt(0)
	v_cmp_eq_u32_e32 vcc, v2, v4
	v_mov_b32_e32 v2, 0
	s_and_saveexec_b64 s[28:29], vcc
	s_cbranch_execz .LBB8_45
; %bb.44:                               ;   in Loop: Header=BB8_4 Depth=1
	ds_read_b32 v2, v26
.LBB8_45:                               ;   in Loop: Header=BB8_4 Depth=1
	s_or_b64 exec, exec, s[28:29]
.LBB8_46:                               ;   in Loop: Header=BB8_4 Depth=1
	s_or_b64 exec, exec, s[6:7]
	s_waitcnt lgkmcnt(0)
	s_barrier
	ds_read_b32 v4, v6
	s_waitcnt lgkmcnt(0)
	v_add_u32_e32 v2, v4, v2
	ds_write_b32 v6, v2
	s_waitcnt lgkmcnt(0)
	s_barrier
	ds_read_b32 v2, v1
	v_mov_b32_e32 v4, -1
	s_and_saveexec_b64 s[6:7], s[20:21]
	s_cbranch_execz .LBB8_48
; %bb.47:                               ;   in Loop: Header=BB8_4 Depth=1
	ds_read_b32 v4, v1 offset:4
.LBB8_48:                               ;   in Loop: Header=BB8_4 Depth=1
	s_or_b64 exec, exec, s[6:7]
	s_waitcnt lgkmcnt(0)
	v_cmp_ne_u32_e32 vcc, v2, v4
	v_cmp_lt_i32_e64 s[6:7], -1, v2
	s_and_b64 s[28:29], s[6:7], vcc
	s_and_saveexec_b64 s[6:7], s[28:29]
	s_cbranch_execz .LBB8_3
; %bb.49:                               ;   in Loop: Header=BB8_4 Depth=1
	ds_read_b32 v29, v6
	s_and_b64 vcc, exec, s[36:37]
	s_cbranch_vccz .LBB8_51
; %bb.50:                               ;   in Loop: Header=BB8_4 Depth=1
	v_mad_u64_u32 v[4:5], s[28:29], v2, s30, 0
	v_mov_b32_e32 v30, v5
	v_mad_u64_u32 v[30:31], s[28:29], v2, s31, v[30:31]
	v_mov_b32_e32 v5, v30
	v_lshlrev_b64 v[4:5], 2, v[4:5]
	v_mov_b32_e32 v30, s38
	v_add_co_u32_e32 v4, vcc, s34, v4
	v_addc_co_u32_e32 v5, vcc, v30, v5, vcc
	s_cbranch_execnz .LBB8_2
	s_branch .LBB8_52
.LBB8_51:                               ;   in Loop: Header=BB8_4 Depth=1
                                        ; implicit-def: $vgpr4_vgpr5
.LBB8_52:                               ;   in Loop: Header=BB8_4 Depth=1
	v_lshlrev_b64 v[4:5], 2, v[2:3]
	v_mov_b32_e32 v2, s40
	v_add_co_u32_e32 v4, vcc, s39, v4
	v_addc_co_u32_e32 v5, vcc, v2, v5, vcc
	s_branch .LBB8_2
.LBB8_53:
	s_endpgm
	.section	.rodata,"a",@progbits
	.p2align	6, 0x0
	.amdhsa_kernel _ZN9rocsparseL28coommnn_general_block_reduceILj1024EiiiEEvT1_S1_PKS1_PKT0_PT2_ll16rocsparse_order_
		.amdhsa_group_segment_fixed_size 8192
		.amdhsa_private_segment_fixed_size 0
		.amdhsa_kernarg_size 52
		.amdhsa_user_sgpr_count 6
		.amdhsa_user_sgpr_private_segment_buffer 1
		.amdhsa_user_sgpr_dispatch_ptr 0
		.amdhsa_user_sgpr_queue_ptr 0
		.amdhsa_user_sgpr_kernarg_segment_ptr 1
		.amdhsa_user_sgpr_dispatch_id 0
		.amdhsa_user_sgpr_flat_scratch_init 0
		.amdhsa_user_sgpr_kernarg_preload_length 0
		.amdhsa_user_sgpr_kernarg_preload_offset 0
		.amdhsa_user_sgpr_private_segment_size 0
		.amdhsa_uses_dynamic_stack 0
		.amdhsa_system_sgpr_private_segment_wavefront_offset 0
		.amdhsa_system_sgpr_workgroup_id_x 1
		.amdhsa_system_sgpr_workgroup_id_y 0
		.amdhsa_system_sgpr_workgroup_id_z 1
		.amdhsa_system_sgpr_workgroup_info 0
		.amdhsa_system_vgpr_workitem_id 0
		.amdhsa_next_free_vgpr 32
		.amdhsa_next_free_sgpr 45
		.amdhsa_accum_offset 32
		.amdhsa_reserve_vcc 1
		.amdhsa_reserve_flat_scratch 0
		.amdhsa_float_round_mode_32 0
		.amdhsa_float_round_mode_16_64 0
		.amdhsa_float_denorm_mode_32 3
		.amdhsa_float_denorm_mode_16_64 3
		.amdhsa_dx10_clamp 1
		.amdhsa_ieee_mode 1
		.amdhsa_fp16_overflow 0
		.amdhsa_tg_split 0
		.amdhsa_exception_fp_ieee_invalid_op 0
		.amdhsa_exception_fp_denorm_src 0
		.amdhsa_exception_fp_ieee_div_zero 0
		.amdhsa_exception_fp_ieee_overflow 0
		.amdhsa_exception_fp_ieee_underflow 0
		.amdhsa_exception_fp_ieee_inexact 0
		.amdhsa_exception_int_div_zero 0
	.end_amdhsa_kernel
	.section	.text._ZN9rocsparseL28coommnn_general_block_reduceILj1024EiiiEEvT1_S1_PKS1_PKT0_PT2_ll16rocsparse_order_,"axG",@progbits,_ZN9rocsparseL28coommnn_general_block_reduceILj1024EiiiEEvT1_S1_PKS1_PKT0_PT2_ll16rocsparse_order_,comdat
.Lfunc_end8:
	.size	_ZN9rocsparseL28coommnn_general_block_reduceILj1024EiiiEEvT1_S1_PKS1_PKT0_PT2_ll16rocsparse_order_, .Lfunc_end8-_ZN9rocsparseL28coommnn_general_block_reduceILj1024EiiiEEvT1_S1_PKS1_PKT0_PT2_ll16rocsparse_order_
                                        ; -- End function
	.section	.AMDGPU.csdata,"",@progbits
; Kernel info:
; codeLenInByte = 1816
; NumSgprs: 49
; NumVgprs: 32
; NumAgprs: 0
; TotalNumVgprs: 32
; ScratchSize: 0
; MemoryBound: 0
; FloatMode: 240
; IeeeMode: 1
; LDSByteSize: 8192 bytes/workgroup (compile time only)
; SGPRBlocks: 6
; VGPRBlocks: 3
; NumSGPRsForWavesPerEU: 49
; NumVGPRsForWavesPerEU: 32
; AccumOffset: 32
; Occupancy: 8
; WaveLimiterHint : 0
; COMPUTE_PGM_RSRC2:SCRATCH_EN: 0
; COMPUTE_PGM_RSRC2:USER_SGPR: 6
; COMPUTE_PGM_RSRC2:TRAP_HANDLER: 0
; COMPUTE_PGM_RSRC2:TGID_X_EN: 1
; COMPUTE_PGM_RSRC2:TGID_Y_EN: 0
; COMPUTE_PGM_RSRC2:TGID_Z_EN: 1
; COMPUTE_PGM_RSRC2:TIDIG_COMP_CNT: 0
; COMPUTE_PGM_RSRC3_GFX90A:ACCUM_OFFSET: 7
; COMPUTE_PGM_RSRC3_GFX90A:TG_SPLIT: 0
	.section	.text._ZN9rocsparseL28coommnn_general_block_reduceILj1024EiliEEvT1_S1_PKS1_PKT0_PT2_ll16rocsparse_order_,"axG",@progbits,_ZN9rocsparseL28coommnn_general_block_reduceILj1024EiliEEvT1_S1_PKS1_PKT0_PT2_ll16rocsparse_order_,comdat
	.globl	_ZN9rocsparseL28coommnn_general_block_reduceILj1024EiliEEvT1_S1_PKS1_PKT0_PT2_ll16rocsparse_order_ ; -- Begin function _ZN9rocsparseL28coommnn_general_block_reduceILj1024EiliEEvT1_S1_PKS1_PKT0_PT2_ll16rocsparse_order_
	.p2align	8
	.type	_ZN9rocsparseL28coommnn_general_block_reduceILj1024EiliEEvT1_S1_PKS1_PKT0_PT2_ll16rocsparse_order_,@function
_ZN9rocsparseL28coommnn_general_block_reduceILj1024EiliEEvT1_S1_PKS1_PKT0_PT2_ll16rocsparse_order_: ; @_ZN9rocsparseL28coommnn_general_block_reduceILj1024EiliEEvT1_S1_PKS1_PKT0_PT2_ll16rocsparse_order_
; %bb.0:
	s_load_dwordx4 s[28:31], s[4:5], 0x0
	s_waitcnt lgkmcnt(0)
	v_cmp_lt_i64_e64 s[0:1], s[30:31], 1
	s_and_b64 vcc, exec, s[0:1]
	s_cbranch_vccnz .LBB9_53
; %bb.1:
	s_load_dwordx8 s[36:43], s[4:5], 0x10
	s_load_dwordx2 s[34:35], s[4:5], 0x30
	s_load_dword s25, s[4:5], 0x38
	s_mov_b32 s24, s7
	s_mov_b32 s7, 0
	s_lshl_b64 s[44:45], s[6:7], 2
	s_waitcnt lgkmcnt(0)
	s_add_u32 s7, s40, s44
	s_addc_u32 s48, s41, s45
	s_ashr_i32 s49, s24, 31
	s_cmp_lg_u32 s25, 1
	s_mul_i32 s25, s24, s35
	s_mul_hi_u32 s33, s24, s34
	s_cselect_b64 s[26:27], -1, 0
	s_add_i32 s25, s33, s25
	s_mul_i32 s33, s49, s34
	s_add_i32 s35, s25, s33
	s_mul_i32 s34, s24, s34
	s_lshl_b64 s[46:47], s[34:35], 2
	s_add_u32 s33, s7, s46
	s_mul_i32 s7, s6, s43
	s_mul_hi_u32 s25, s6, s42
	s_addc_u32 s34, s48, s47
	s_add_i32 s7, s25, s7
	s_mul_i32 s6, s6, s42
	s_lshl_b64 s[6:7], s[6:7], 2
	s_add_u32 s6, s40, s6
	s_addc_u32 s7, s41, s7
	s_add_u32 s35, s6, s46
	s_addc_u32 s40, s7, s47
	s_mul_hi_u32 s6, s28, s24
	s_mul_i32 s7, s28, s49
	s_add_i32 s6, s6, s7
	s_mul_i32 s7, s29, s24
	s_add_i32 s7, s6, s7
	s_mul_i32 s6, s28, s24
	s_lshl_b64 s[6:7], s[6:7], 2
	s_add_u32 s6, s6, s44
	s_addc_u32 s7, s7, s45
	s_mul_i32 s7, s30, s7
	s_mul_hi_u32 s25, s30, s6
	s_add_i32 s7, s25, s7
	s_mul_i32 s25, s31, s6
	s_add_i32 s7, s7, s25
	s_mul_i32 s6, s30, s6
	s_add_u32 s6, s38, s6
	v_lshlrev_b32_e32 v2, 2, v0
	s_addc_u32 s7, s39, s7
	v_or_b32_e32 v10, 0x2000, v2
	v_add_u32_e32 v12, 0x1ffc, v2
	v_add_u32_e32 v14, 0x1ff8, v2
	;; [unrolled: 1-line block ×10, first 2 shown]
	v_mov_b32_e32 v3, s7
	v_add_co_u32_e32 v2, vcc, s6, v2
	s_mul_hi_u32 s6, s30, s24
	s_mul_i32 s7, s30, s49
	s_add_i32 s6, s6, s7
	s_mul_i32 s7, s31, s24
	s_add_i32 s7, s6, s7
	s_mul_i32 s6, s30, s24
	s_lshl_b64 s[6:7], s[6:7], 3
	s_add_u32 s6, s36, s6
	v_lshlrev_b32_e32 v1, 3, v0
	v_addc_co_u32_e32 v3, vcc, 0, v3, vcc
	s_addc_u32 s7, s37, s7
	s_movk_i32 s14, 0x7f
	s_movk_i32 s16, 0xff
	;; [unrolled: 1-line block ×4, first 2 shown]
	v_mov_b32_e32 v5, s7
	v_add_co_u32_e32 v4, vcc, s6, v1
	v_cmp_ne_u32_e64 s[0:1], 0, v0
	v_add_u32_e32 v11, -8, v1
	v_cmp_lt_u32_e64 s[2:3], 1, v0
	v_add_u32_e32 v13, -16, v1
	v_cmp_lt_u32_e64 s[4:5], 3, v0
	v_subrev_u32_e32 v15, 32, v1
	v_cmp_lt_u32_e64 s[22:23], 7, v0
	v_subrev_u32_e32 v17, 64, v1
	v_cmp_lt_u32_e64 s[8:9], 15, v0
	v_add_u32_e32 v19, 0xffffff80, v1
	v_cmp_lt_u32_e64 s[10:11], 31, v0
	v_add_u32_e32 v21, 0xffffff00, v1
	;; [unrolled: 2-line block ×6, first 2 shown]
	v_cmp_ne_u32_e64 s[20:21], s20, v0
	v_addc_co_u32_e32 v5, vcc, 0, v5, vcc
	s_mov_b64 s[24:25], 0
	s_branch .LBB9_4
.LBB9_2:                                ;   in Loop: Header=BB9_4 Depth=1
	global_load_dword v6, v[8:9], off
	s_waitcnt vmcnt(0) lgkmcnt(0)
	v_add_u32_e32 v6, v6, v31
	global_store_dword v[8:9], v6, off
.LBB9_3:                                ;   in Loop: Header=BB9_4 Depth=1
	s_or_b64 exec, exec, s[6:7]
	v_add_co_u32_e32 v2, vcc, 0x1000, v2
	v_addc_co_u32_e32 v3, vcc, 0, v3, vcc
	s_add_u32 s24, s24, 0x400
	v_add_co_u32_e32 v4, vcc, 0x2000, v4
	s_addc_u32 s25, s25, 0
	v_addc_co_u32_e32 v5, vcc, 0, v5, vcc
	v_pk_mov_b32 v[6:7], s[30:31], s[30:31] op_sel:[0,1]
	v_cmp_ge_i64_e32 vcc, s[24:25], v[6:7]
	s_barrier
	s_cbranch_vccnz .LBB9_53
.LBB9_4:                                ; =>This Inner Loop Header: Depth=1
	v_mov_b32_e32 v7, s25
	v_add_co_u32_e32 v6, vcc, s24, v0
	v_addc_co_u32_e32 v7, vcc, 0, v7, vcc
	v_cmp_gt_i64_e32 vcc, s[30:31], v[6:7]
	v_pk_mov_b32 v[6:7], -1, -1
	v_mov_b32_e32 v8, 0
	s_and_saveexec_b64 s[6:7], vcc
	s_cbranch_execz .LBB9_6
; %bb.5:                                ;   in Loop: Header=BB9_4 Depth=1
	global_load_dwordx2 v[6:7], v[4:5], off
	global_load_dword v8, v[2:3], off
.LBB9_6:                                ;   in Loop: Header=BB9_4 Depth=1
	s_or_b64 exec, exec, s[6:7]
	s_waitcnt vmcnt(1)
	ds_write_b64 v1, v[6:7]
	s_waitcnt vmcnt(0)
	ds_write_b32 v10, v8
	v_mov_b32_e32 v6, 0
	s_waitcnt lgkmcnt(0)
	s_barrier
	s_and_saveexec_b64 s[6:7], s[0:1]
	s_cbranch_execz .LBB9_10
; %bb.7:                                ;   in Loop: Header=BB9_4 Depth=1
	ds_read2_b64 v[6:9], v11 offset1:1
	s_waitcnt lgkmcnt(0)
	v_cmp_eq_u64_e32 vcc, v[8:9], v[6:7]
	v_mov_b32_e32 v6, 0
	s_and_saveexec_b64 s[28:29], vcc
	s_cbranch_execz .LBB9_9
; %bb.8:                                ;   in Loop: Header=BB9_4 Depth=1
	ds_read_b32 v6, v12
.LBB9_9:                                ;   in Loop: Header=BB9_4 Depth=1
	s_or_b64 exec, exec, s[28:29]
.LBB9_10:                               ;   in Loop: Header=BB9_4 Depth=1
	s_or_b64 exec, exec, s[6:7]
	s_waitcnt lgkmcnt(0)
	s_barrier
	ds_read_b32 v7, v10
	s_waitcnt lgkmcnt(0)
	v_add_u32_e32 v6, v7, v6
	ds_write_b32 v10, v6
	v_mov_b32_e32 v6, 0
	v_mov_b32_e32 v7, 0
	s_waitcnt lgkmcnt(0)
	s_barrier
	s_and_saveexec_b64 s[6:7], s[2:3]
	s_cbranch_execz .LBB9_14
; %bb.11:                               ;   in Loop: Header=BB9_4 Depth=1
	ds_read_b64 v[8:9], v1
	ds_read_b64 v[32:33], v13
	v_mov_b32_e32 v7, 0
	s_waitcnt lgkmcnt(0)
	v_cmp_eq_u64_e32 vcc, v[8:9], v[32:33]
	s_and_saveexec_b64 s[28:29], vcc
	s_cbranch_execz .LBB9_13
; %bb.12:                               ;   in Loop: Header=BB9_4 Depth=1
	ds_read_b32 v7, v14
.LBB9_13:                               ;   in Loop: Header=BB9_4 Depth=1
	s_or_b64 exec, exec, s[28:29]
.LBB9_14:                               ;   in Loop: Header=BB9_4 Depth=1
	s_or_b64 exec, exec, s[6:7]
	s_waitcnt lgkmcnt(0)
	s_barrier
	ds_read_b32 v8, v10
	s_waitcnt lgkmcnt(0)
	v_add_u32_e32 v7, v8, v7
	ds_write_b32 v10, v7
	s_waitcnt lgkmcnt(0)
	s_barrier
	s_and_saveexec_b64 s[6:7], s[4:5]
	s_cbranch_execz .LBB9_18
; %bb.15:                               ;   in Loop: Header=BB9_4 Depth=1
	ds_read_b64 v[6:7], v1
	ds_read_b64 v[8:9], v15
	s_waitcnt lgkmcnt(0)
	v_cmp_eq_u64_e32 vcc, v[6:7], v[8:9]
	v_mov_b32_e32 v6, 0
	s_and_saveexec_b64 s[28:29], vcc
	s_cbranch_execz .LBB9_17
; %bb.16:                               ;   in Loop: Header=BB9_4 Depth=1
	ds_read_b32 v6, v16
.LBB9_17:                               ;   in Loop: Header=BB9_4 Depth=1
	s_or_b64 exec, exec, s[28:29]
.LBB9_18:                               ;   in Loop: Header=BB9_4 Depth=1
	s_or_b64 exec, exec, s[6:7]
	s_waitcnt lgkmcnt(0)
	s_barrier
	ds_read_b32 v7, v10
	s_waitcnt lgkmcnt(0)
	v_add_u32_e32 v6, v7, v6
	ds_write_b32 v10, v6
	v_mov_b32_e32 v6, 0
	v_mov_b32_e32 v7, 0
	s_waitcnt lgkmcnt(0)
	s_barrier
	s_and_saveexec_b64 s[6:7], s[22:23]
	s_cbranch_execz .LBB9_22
; %bb.19:                               ;   in Loop: Header=BB9_4 Depth=1
	ds_read_b64 v[8:9], v1
	ds_read_b64 v[32:33], v17
	v_mov_b32_e32 v7, 0
	s_waitcnt lgkmcnt(0)
	v_cmp_eq_u64_e32 vcc, v[8:9], v[32:33]
	s_and_saveexec_b64 s[28:29], vcc
	s_cbranch_execz .LBB9_21
; %bb.20:                               ;   in Loop: Header=BB9_4 Depth=1
	ds_read_b32 v7, v18
.LBB9_21:                               ;   in Loop: Header=BB9_4 Depth=1
	s_or_b64 exec, exec, s[28:29]
.LBB9_22:                               ;   in Loop: Header=BB9_4 Depth=1
	s_or_b64 exec, exec, s[6:7]
	s_waitcnt lgkmcnt(0)
	s_barrier
	ds_read_b32 v8, v10
	s_waitcnt lgkmcnt(0)
	v_add_u32_e32 v7, v8, v7
	ds_write_b32 v10, v7
	s_waitcnt lgkmcnt(0)
	s_barrier
	s_and_saveexec_b64 s[6:7], s[8:9]
	s_cbranch_execz .LBB9_26
; %bb.23:                               ;   in Loop: Header=BB9_4 Depth=1
	ds_read_b64 v[6:7], v1
	ds_read_b64 v[8:9], v19
	s_waitcnt lgkmcnt(0)
	v_cmp_eq_u64_e32 vcc, v[6:7], v[8:9]
	v_mov_b32_e32 v6, 0
	s_and_saveexec_b64 s[28:29], vcc
	s_cbranch_execz .LBB9_25
; %bb.24:                               ;   in Loop: Header=BB9_4 Depth=1
	ds_read_b32 v6, v20
.LBB9_25:                               ;   in Loop: Header=BB9_4 Depth=1
	s_or_b64 exec, exec, s[28:29]
.LBB9_26:                               ;   in Loop: Header=BB9_4 Depth=1
	;; [unrolled: 50-line block ×4, first 2 shown]
	s_or_b64 exec, exec, s[6:7]
	s_waitcnt lgkmcnt(0)
	s_barrier
	ds_read_b32 v7, v10
	s_waitcnt lgkmcnt(0)
	v_add_u32_e32 v6, v7, v6
	ds_write_b32 v10, v6
	v_mov_b32_e32 v6, 0
	s_waitcnt lgkmcnt(0)
	s_barrier
	s_and_saveexec_b64 s[6:7], s[18:19]
	s_cbranch_execz .LBB9_46
; %bb.43:                               ;   in Loop: Header=BB9_4 Depth=1
	ds_read_b64 v[6:7], v1
	ds_read_b64 v[8:9], v29
	s_waitcnt lgkmcnt(0)
	v_cmp_eq_u64_e32 vcc, v[6:7], v[8:9]
	v_mov_b32_e32 v6, 0
	s_and_saveexec_b64 s[28:29], vcc
	s_cbranch_execz .LBB9_45
; %bb.44:                               ;   in Loop: Header=BB9_4 Depth=1
	ds_read_b32 v6, v30
.LBB9_45:                               ;   in Loop: Header=BB9_4 Depth=1
	s_or_b64 exec, exec, s[28:29]
.LBB9_46:                               ;   in Loop: Header=BB9_4 Depth=1
	s_or_b64 exec, exec, s[6:7]
	s_waitcnt lgkmcnt(0)
	s_barrier
	ds_read_b32 v7, v10
	v_pk_mov_b32 v[8:9], -1, -1
	s_waitcnt lgkmcnt(0)
	v_add_u32_e32 v6, v7, v6
	ds_write_b32 v10, v6
	s_waitcnt lgkmcnt(0)
	s_barrier
	ds_read_b64 v[6:7], v1
	s_and_saveexec_b64 s[6:7], s[20:21]
	s_cbranch_execz .LBB9_48
; %bb.47:                               ;   in Loop: Header=BB9_4 Depth=1
	ds_read_b64 v[8:9], v1 offset:8
.LBB9_48:                               ;   in Loop: Header=BB9_4 Depth=1
	s_or_b64 exec, exec, s[6:7]
	s_waitcnt lgkmcnt(0)
	v_cmp_ne_u64_e32 vcc, v[6:7], v[8:9]
	v_cmp_lt_i64_e64 s[6:7], -1, v[6:7]
	s_and_b64 s[28:29], s[6:7], vcc
	s_and_saveexec_b64 s[6:7], s[28:29]
	s_cbranch_execz .LBB9_3
; %bb.49:                               ;   in Loop: Header=BB9_4 Depth=1
	ds_read_b32 v31, v10
	s_and_b64 vcc, exec, s[26:27]
	s_cbranch_vccz .LBB9_51
; %bb.50:                               ;   in Loop: Header=BB9_4 Depth=1
	v_mul_lo_u32 v32, v7, s42
	v_mul_lo_u32 v33, v6, s43
	v_mad_u64_u32 v[8:9], s[28:29], v6, s42, 0
	v_add3_u32 v9, v9, v33, v32
	v_lshlrev_b64 v[8:9], 2, v[8:9]
	v_mov_b32_e32 v32, s34
	v_add_co_u32_e32 v8, vcc, s33, v8
	v_addc_co_u32_e32 v9, vcc, v32, v9, vcc
	s_cbranch_execnz .LBB9_2
	s_branch .LBB9_52
.LBB9_51:                               ;   in Loop: Header=BB9_4 Depth=1
                                        ; implicit-def: $vgpr8_vgpr9
.LBB9_52:                               ;   in Loop: Header=BB9_4 Depth=1
	v_lshlrev_b64 v[6:7], 2, v[6:7]
	v_mov_b32_e32 v9, s40
	v_add_co_u32_e32 v8, vcc, s35, v6
	v_addc_co_u32_e32 v9, vcc, v9, v7, vcc
	s_branch .LBB9_2
.LBB9_53:
	s_endpgm
	.section	.rodata,"a",@progbits
	.p2align	6, 0x0
	.amdhsa_kernel _ZN9rocsparseL28coommnn_general_block_reduceILj1024EiliEEvT1_S1_PKS1_PKT0_PT2_ll16rocsparse_order_
		.amdhsa_group_segment_fixed_size 12288
		.amdhsa_private_segment_fixed_size 0
		.amdhsa_kernarg_size 60
		.amdhsa_user_sgpr_count 6
		.amdhsa_user_sgpr_private_segment_buffer 1
		.amdhsa_user_sgpr_dispatch_ptr 0
		.amdhsa_user_sgpr_queue_ptr 0
		.amdhsa_user_sgpr_kernarg_segment_ptr 1
		.amdhsa_user_sgpr_dispatch_id 0
		.amdhsa_user_sgpr_flat_scratch_init 0
		.amdhsa_user_sgpr_kernarg_preload_length 0
		.amdhsa_user_sgpr_kernarg_preload_offset 0
		.amdhsa_user_sgpr_private_segment_size 0
		.amdhsa_uses_dynamic_stack 0
		.amdhsa_system_sgpr_private_segment_wavefront_offset 0
		.amdhsa_system_sgpr_workgroup_id_x 1
		.amdhsa_system_sgpr_workgroup_id_y 0
		.amdhsa_system_sgpr_workgroup_id_z 1
		.amdhsa_system_sgpr_workgroup_info 0
		.amdhsa_system_vgpr_workitem_id 0
		.amdhsa_next_free_vgpr 34
		.amdhsa_next_free_sgpr 50
		.amdhsa_accum_offset 36
		.amdhsa_reserve_vcc 1
		.amdhsa_reserve_flat_scratch 0
		.amdhsa_float_round_mode_32 0
		.amdhsa_float_round_mode_16_64 0
		.amdhsa_float_denorm_mode_32 3
		.amdhsa_float_denorm_mode_16_64 3
		.amdhsa_dx10_clamp 1
		.amdhsa_ieee_mode 1
		.amdhsa_fp16_overflow 0
		.amdhsa_tg_split 0
		.amdhsa_exception_fp_ieee_invalid_op 0
		.amdhsa_exception_fp_denorm_src 0
		.amdhsa_exception_fp_ieee_div_zero 0
		.amdhsa_exception_fp_ieee_overflow 0
		.amdhsa_exception_fp_ieee_underflow 0
		.amdhsa_exception_fp_ieee_inexact 0
		.amdhsa_exception_int_div_zero 0
	.end_amdhsa_kernel
	.section	.text._ZN9rocsparseL28coommnn_general_block_reduceILj1024EiliEEvT1_S1_PKS1_PKT0_PT2_ll16rocsparse_order_,"axG",@progbits,_ZN9rocsparseL28coommnn_general_block_reduceILj1024EiliEEvT1_S1_PKS1_PKT0_PT2_ll16rocsparse_order_,comdat
.Lfunc_end9:
	.size	_ZN9rocsparseL28coommnn_general_block_reduceILj1024EiliEEvT1_S1_PKS1_PKT0_PT2_ll16rocsparse_order_, .Lfunc_end9-_ZN9rocsparseL28coommnn_general_block_reduceILj1024EiliEEvT1_S1_PKS1_PKT0_PT2_ll16rocsparse_order_
                                        ; -- End function
	.section	.AMDGPU.csdata,"",@progbits
; Kernel info:
; codeLenInByte = 1932
; NumSgprs: 54
; NumVgprs: 34
; NumAgprs: 0
; TotalNumVgprs: 34
; ScratchSize: 0
; MemoryBound: 0
; FloatMode: 240
; IeeeMode: 1
; LDSByteSize: 12288 bytes/workgroup (compile time only)
; SGPRBlocks: 6
; VGPRBlocks: 4
; NumSGPRsForWavesPerEU: 54
; NumVGPRsForWavesPerEU: 34
; AccumOffset: 36
; Occupancy: 8
; WaveLimiterHint : 0
; COMPUTE_PGM_RSRC2:SCRATCH_EN: 0
; COMPUTE_PGM_RSRC2:USER_SGPR: 6
; COMPUTE_PGM_RSRC2:TRAP_HANDLER: 0
; COMPUTE_PGM_RSRC2:TGID_X_EN: 1
; COMPUTE_PGM_RSRC2:TGID_Y_EN: 0
; COMPUTE_PGM_RSRC2:TGID_Z_EN: 1
; COMPUTE_PGM_RSRC2:TIDIG_COMP_CNT: 0
; COMPUTE_PGM_RSRC3_GFX90A:ACCUM_OFFSET: 8
; COMPUTE_PGM_RSRC3_GFX90A:TG_SPLIT: 0
	.text
	.p2alignl 6, 3212836864
	.fill 256, 4, 3212836864
	.type	__hip_cuid_9a636a9efb013fc1,@object ; @__hip_cuid_9a636a9efb013fc1
	.section	.bss,"aw",@nobits
	.globl	__hip_cuid_9a636a9efb013fc1
__hip_cuid_9a636a9efb013fc1:
	.byte	0                               ; 0x0
	.size	__hip_cuid_9a636a9efb013fc1, 1

	.ident	"AMD clang version 19.0.0git (https://github.com/RadeonOpenCompute/llvm-project roc-6.4.0 25133 c7fe45cf4b819c5991fe208aaa96edf142730f1d)"
	.section	".note.GNU-stack","",@progbits
	.addrsig
	.addrsig_sym __hip_cuid_9a636a9efb013fc1
	.amdgpu_metadata
---
amdhsa.kernels:
  - .agpr_count:     0
    .args:
      - .offset:         0
        .size:           4
        .value_kind:     by_value
      - .offset:         4
        .size:           4
        .value_kind:     by_value
      - .actual_access:  read_only
        .address_space:  global
        .offset:         8
        .size:           8
        .value_kind:     global_buffer
      - .actual_access:  read_only
        .address_space:  global
        .offset:         16
        .size:           8
        .value_kind:     global_buffer
      - .address_space:  global
        .offset:         24
        .size:           8
        .value_kind:     global_buffer
      - .offset:         32
        .size:           8
        .value_kind:     by_value
      - .offset:         40
        .size:           8
        .value_kind:     by_value
      - .offset:         48
        .size:           4
        .value_kind:     by_value
    .group_segment_fixed_size: 8192
    .kernarg_segment_align: 8
    .kernarg_segment_size: 52
    .language:       OpenCL C
    .language_version:
      - 2
      - 0
    .max_flat_workgroup_size: 1024
    .name:           _ZN9rocsparseL28coommnn_general_block_reduceILj1024EfifEEvT1_S1_PKS1_PKT0_PT2_ll16rocsparse_order_
    .private_segment_fixed_size: 0
    .sgpr_count:     49
    .sgpr_spill_count: 0
    .symbol:         _ZN9rocsparseL28coommnn_general_block_reduceILj1024EfifEEvT1_S1_PKS1_PKT0_PT2_ll16rocsparse_order_.kd
    .uniform_work_group_size: 1
    .uses_dynamic_stack: false
    .vgpr_count:     32
    .vgpr_spill_count: 0
    .wavefront_size: 64
  - .agpr_count:     0
    .args:
      - .offset:         0
        .size:           8
        .value_kind:     by_value
      - .offset:         8
        .size:           8
        .value_kind:     by_value
      - .actual_access:  read_only
        .address_space:  global
        .offset:         16
        .size:           8
        .value_kind:     global_buffer
      - .actual_access:  read_only
        .address_space:  global
        .offset:         24
        .size:           8
        .value_kind:     global_buffer
      - .address_space:  global
        .offset:         32
        .size:           8
        .value_kind:     global_buffer
      - .offset:         40
        .size:           8
        .value_kind:     by_value
      - .offset:         48
        .size:           8
        .value_kind:     by_value
      - .offset:         56
        .size:           4
        .value_kind:     by_value
    .group_segment_fixed_size: 12288
    .kernarg_segment_align: 8
    .kernarg_segment_size: 60
    .language:       OpenCL C
    .language_version:
      - 2
      - 0
    .max_flat_workgroup_size: 1024
    .name:           _ZN9rocsparseL28coommnn_general_block_reduceILj1024EflfEEvT1_S1_PKS1_PKT0_PT2_ll16rocsparse_order_
    .private_segment_fixed_size: 0
    .sgpr_count:     54
    .sgpr_spill_count: 0
    .symbol:         _ZN9rocsparseL28coommnn_general_block_reduceILj1024EflfEEvT1_S1_PKS1_PKT0_PT2_ll16rocsparse_order_.kd
    .uniform_work_group_size: 1
    .uses_dynamic_stack: false
    .vgpr_count:     34
    .vgpr_spill_count: 0
    .wavefront_size: 64
  - .agpr_count:     0
    .args:
      - .offset:         0
        .size:           4
        .value_kind:     by_value
      - .offset:         4
        .size:           4
        .value_kind:     by_value
      - .actual_access:  read_only
        .address_space:  global
        .offset:         8
        .size:           8
        .value_kind:     global_buffer
      - .actual_access:  read_only
        .address_space:  global
        .offset:         16
        .size:           8
        .value_kind:     global_buffer
      - .address_space:  global
        .offset:         24
        .size:           8
        .value_kind:     global_buffer
      - .offset:         32
        .size:           8
        .value_kind:     by_value
      - .offset:         40
        .size:           8
        .value_kind:     by_value
      - .offset:         48
        .size:           4
        .value_kind:     by_value
    .group_segment_fixed_size: 12288
    .kernarg_segment_align: 8
    .kernarg_segment_size: 52
    .language:       OpenCL C
    .language_version:
      - 2
      - 0
    .max_flat_workgroup_size: 1024
    .name:           _ZN9rocsparseL28coommnn_general_block_reduceILj1024EdidEEvT1_S1_PKS1_PKT0_PT2_ll16rocsparse_order_
    .private_segment_fixed_size: 0
    .sgpr_count:     49
    .sgpr_spill_count: 0
    .symbol:         _ZN9rocsparseL28coommnn_general_block_reduceILj1024EdidEEvT1_S1_PKS1_PKT0_PT2_ll16rocsparse_order_.kd
    .uniform_work_group_size: 1
    .uses_dynamic_stack: false
    .vgpr_count:     34
    .vgpr_spill_count: 0
    .wavefront_size: 64
  - .agpr_count:     0
    .args:
      - .offset:         0
        .size:           8
        .value_kind:     by_value
      - .offset:         8
        .size:           8
        .value_kind:     by_value
      - .actual_access:  read_only
        .address_space:  global
        .offset:         16
        .size:           8
        .value_kind:     global_buffer
      - .actual_access:  read_only
        .address_space:  global
        .offset:         24
        .size:           8
        .value_kind:     global_buffer
      - .address_space:  global
        .offset:         32
        .size:           8
        .value_kind:     global_buffer
      - .offset:         40
        .size:           8
        .value_kind:     by_value
      - .offset:         48
        .size:           8
        .value_kind:     by_value
      - .offset:         56
        .size:           4
        .value_kind:     by_value
    .group_segment_fixed_size: 16384
    .kernarg_segment_align: 8
    .kernarg_segment_size: 60
    .language:       OpenCL C
    .language_version:
      - 2
      - 0
    .max_flat_workgroup_size: 1024
    .name:           _ZN9rocsparseL28coommnn_general_block_reduceILj1024EdldEEvT1_S1_PKS1_PKT0_PT2_ll16rocsparse_order_
    .private_segment_fixed_size: 0
    .sgpr_count:     54
    .sgpr_spill_count: 0
    .symbol:         _ZN9rocsparseL28coommnn_general_block_reduceILj1024EdldEEvT1_S1_PKS1_PKT0_PT2_ll16rocsparse_order_.kd
    .uniform_work_group_size: 1
    .uses_dynamic_stack: false
    .vgpr_count:     35
    .vgpr_spill_count: 0
    .wavefront_size: 64
  - .agpr_count:     0
    .args:
      - .offset:         0
        .size:           4
        .value_kind:     by_value
      - .offset:         4
        .size:           4
        .value_kind:     by_value
      - .actual_access:  read_only
        .address_space:  global
        .offset:         8
        .size:           8
        .value_kind:     global_buffer
      - .actual_access:  read_only
        .address_space:  global
        .offset:         16
        .size:           8
        .value_kind:     global_buffer
      - .address_space:  global
        .offset:         24
        .size:           8
        .value_kind:     global_buffer
      - .offset:         32
        .size:           8
        .value_kind:     by_value
      - .offset:         40
        .size:           8
        .value_kind:     by_value
      - .offset:         48
        .size:           4
        .value_kind:     by_value
    .group_segment_fixed_size: 12288
    .kernarg_segment_align: 8
    .kernarg_segment_size: 52
    .language:       OpenCL C
    .language_version:
      - 2
      - 0
    .max_flat_workgroup_size: 1024
    .name:           _ZN9rocsparseL28coommnn_general_block_reduceILj1024E21rocsparse_complex_numIfEiS2_EEvT1_S3_PKS3_PKT0_PT2_ll16rocsparse_order_
    .private_segment_fixed_size: 0
    .sgpr_count:     49
    .sgpr_spill_count: 0
    .symbol:         _ZN9rocsparseL28coommnn_general_block_reduceILj1024E21rocsparse_complex_numIfEiS2_EEvT1_S3_PKS3_PKT0_PT2_ll16rocsparse_order_.kd
    .uniform_work_group_size: 1
    .uses_dynamic_stack: false
    .vgpr_count:     34
    .vgpr_spill_count: 0
    .wavefront_size: 64
  - .agpr_count:     0
    .args:
      - .offset:         0
        .size:           8
        .value_kind:     by_value
      - .offset:         8
        .size:           8
        .value_kind:     by_value
      - .actual_access:  read_only
        .address_space:  global
        .offset:         16
        .size:           8
        .value_kind:     global_buffer
      - .actual_access:  read_only
        .address_space:  global
        .offset:         24
        .size:           8
        .value_kind:     global_buffer
      - .address_space:  global
        .offset:         32
        .size:           8
        .value_kind:     global_buffer
      - .offset:         40
        .size:           8
        .value_kind:     by_value
      - .offset:         48
        .size:           8
        .value_kind:     by_value
      - .offset:         56
        .size:           4
        .value_kind:     by_value
    .group_segment_fixed_size: 16384
    .kernarg_segment_align: 8
    .kernarg_segment_size: 60
    .language:       OpenCL C
    .language_version:
      - 2
      - 0
    .max_flat_workgroup_size: 1024
    .name:           _ZN9rocsparseL28coommnn_general_block_reduceILj1024E21rocsparse_complex_numIfElS2_EEvT1_S3_PKS3_PKT0_PT2_ll16rocsparse_order_
    .private_segment_fixed_size: 0
    .sgpr_count:     54
    .sgpr_spill_count: 0
    .symbol:         _ZN9rocsparseL28coommnn_general_block_reduceILj1024E21rocsparse_complex_numIfElS2_EEvT1_S3_PKS3_PKT0_PT2_ll16rocsparse_order_.kd
    .uniform_work_group_size: 1
    .uses_dynamic_stack: false
    .vgpr_count:     36
    .vgpr_spill_count: 0
    .wavefront_size: 64
  - .agpr_count:     0
    .args:
      - .offset:         0
        .size:           4
        .value_kind:     by_value
      - .offset:         4
        .size:           4
        .value_kind:     by_value
      - .actual_access:  read_only
        .address_space:  global
        .offset:         8
        .size:           8
        .value_kind:     global_buffer
      - .actual_access:  read_only
        .address_space:  global
        .offset:         16
        .size:           8
        .value_kind:     global_buffer
      - .address_space:  global
        .offset:         24
        .size:           8
        .value_kind:     global_buffer
      - .offset:         32
        .size:           8
        .value_kind:     by_value
      - .offset:         40
        .size:           8
        .value_kind:     by_value
      - .offset:         48
        .size:           4
        .value_kind:     by_value
    .group_segment_fixed_size: 20480
    .kernarg_segment_align: 8
    .kernarg_segment_size: 52
    .language:       OpenCL C
    .language_version:
      - 2
      - 0
    .max_flat_workgroup_size: 1024
    .name:           _ZN9rocsparseL28coommnn_general_block_reduceILj1024E21rocsparse_complex_numIdEiS2_EEvT1_S3_PKS3_PKT0_PT2_ll16rocsparse_order_
    .private_segment_fixed_size: 0
    .sgpr_count:     49
    .sgpr_spill_count: 0
    .symbol:         _ZN9rocsparseL28coommnn_general_block_reduceILj1024E21rocsparse_complex_numIdEiS2_EEvT1_S3_PKS3_PKT0_PT2_ll16rocsparse_order_.kd
    .uniform_work_group_size: 1
    .uses_dynamic_stack: false
    .vgpr_count:     40
    .vgpr_spill_count: 0
    .wavefront_size: 64
  - .agpr_count:     0
    .args:
      - .offset:         0
        .size:           8
        .value_kind:     by_value
      - .offset:         8
        .size:           8
        .value_kind:     by_value
      - .actual_access:  read_only
        .address_space:  global
        .offset:         16
        .size:           8
        .value_kind:     global_buffer
      - .actual_access:  read_only
        .address_space:  global
        .offset:         24
        .size:           8
        .value_kind:     global_buffer
      - .address_space:  global
        .offset:         32
        .size:           8
        .value_kind:     global_buffer
      - .offset:         40
        .size:           8
        .value_kind:     by_value
      - .offset:         48
        .size:           8
        .value_kind:     by_value
      - .offset:         56
        .size:           4
        .value_kind:     by_value
    .group_segment_fixed_size: 24576
    .kernarg_segment_align: 8
    .kernarg_segment_size: 60
    .language:       OpenCL C
    .language_version:
      - 2
      - 0
    .max_flat_workgroup_size: 1024
    .name:           _ZN9rocsparseL28coommnn_general_block_reduceILj1024E21rocsparse_complex_numIdElS2_EEvT1_S3_PKS3_PKT0_PT2_ll16rocsparse_order_
    .private_segment_fixed_size: 0
    .sgpr_count:     54
    .sgpr_spill_count: 0
    .symbol:         _ZN9rocsparseL28coommnn_general_block_reduceILj1024E21rocsparse_complex_numIdElS2_EEvT1_S3_PKS3_PKT0_PT2_ll16rocsparse_order_.kd
    .uniform_work_group_size: 1
    .uses_dynamic_stack: false
    .vgpr_count:     40
    .vgpr_spill_count: 0
    .wavefront_size: 64
  - .agpr_count:     0
    .args:
      - .offset:         0
        .size:           4
        .value_kind:     by_value
      - .offset:         4
        .size:           4
        .value_kind:     by_value
      - .actual_access:  read_only
        .address_space:  global
        .offset:         8
        .size:           8
        .value_kind:     global_buffer
      - .actual_access:  read_only
        .address_space:  global
        .offset:         16
        .size:           8
        .value_kind:     global_buffer
      - .address_space:  global
        .offset:         24
        .size:           8
        .value_kind:     global_buffer
      - .offset:         32
        .size:           8
        .value_kind:     by_value
      - .offset:         40
        .size:           8
        .value_kind:     by_value
      - .offset:         48
        .size:           4
        .value_kind:     by_value
    .group_segment_fixed_size: 8192
    .kernarg_segment_align: 8
    .kernarg_segment_size: 52
    .language:       OpenCL C
    .language_version:
      - 2
      - 0
    .max_flat_workgroup_size: 1024
    .name:           _ZN9rocsparseL28coommnn_general_block_reduceILj1024EiiiEEvT1_S1_PKS1_PKT0_PT2_ll16rocsparse_order_
    .private_segment_fixed_size: 0
    .sgpr_count:     49
    .sgpr_spill_count: 0
    .symbol:         _ZN9rocsparseL28coommnn_general_block_reduceILj1024EiiiEEvT1_S1_PKS1_PKT0_PT2_ll16rocsparse_order_.kd
    .uniform_work_group_size: 1
    .uses_dynamic_stack: false
    .vgpr_count:     32
    .vgpr_spill_count: 0
    .wavefront_size: 64
  - .agpr_count:     0
    .args:
      - .offset:         0
        .size:           8
        .value_kind:     by_value
      - .offset:         8
        .size:           8
        .value_kind:     by_value
      - .actual_access:  read_only
        .address_space:  global
        .offset:         16
        .size:           8
        .value_kind:     global_buffer
      - .actual_access:  read_only
        .address_space:  global
        .offset:         24
        .size:           8
        .value_kind:     global_buffer
      - .address_space:  global
        .offset:         32
        .size:           8
        .value_kind:     global_buffer
      - .offset:         40
        .size:           8
        .value_kind:     by_value
      - .offset:         48
        .size:           8
        .value_kind:     by_value
      - .offset:         56
        .size:           4
        .value_kind:     by_value
    .group_segment_fixed_size: 12288
    .kernarg_segment_align: 8
    .kernarg_segment_size: 60
    .language:       OpenCL C
    .language_version:
      - 2
      - 0
    .max_flat_workgroup_size: 1024
    .name:           _ZN9rocsparseL28coommnn_general_block_reduceILj1024EiliEEvT1_S1_PKS1_PKT0_PT2_ll16rocsparse_order_
    .private_segment_fixed_size: 0
    .sgpr_count:     54
    .sgpr_spill_count: 0
    .symbol:         _ZN9rocsparseL28coommnn_general_block_reduceILj1024EiliEEvT1_S1_PKS1_PKT0_PT2_ll16rocsparse_order_.kd
    .uniform_work_group_size: 1
    .uses_dynamic_stack: false
    .vgpr_count:     34
    .vgpr_spill_count: 0
    .wavefront_size: 64
amdhsa.target:   amdgcn-amd-amdhsa--gfx90a
amdhsa.version:
  - 1
  - 2
...

	.end_amdgpu_metadata
